;; amdgpu-corpus repo=ROCm/composable_kernel kind=compiled arch=gfx90a opt=O3
	.text
	.amdgcn_target "amdgcn-amd-amdhsa--gfx90a"
	.amdhsa_code_object_version 6
	.section	.text._ZN2ckL12flush_icacheEv,"axG",@progbits,_ZN2ckL12flush_icacheEv,comdat
	.globl	_ZN2ckL12flush_icacheEv         ; -- Begin function _ZN2ckL12flush_icacheEv
	.p2align	8
	.type	_ZN2ckL12flush_icacheEv,@function
_ZN2ckL12flush_icacheEv:                ; @_ZN2ckL12flush_icacheEv
; %bb.0:
	;;#ASMSTART
	s_icache_inv 
	s_nop 0 
	s_nop 0 
	;; [unrolled: 1-line block ×16, first 2 shown]
	
	;;#ASMEND
	s_endpgm
	.section	.rodata,"a",@progbits
	.p2align	6, 0x0
	.amdhsa_kernel _ZN2ckL12flush_icacheEv
		.amdhsa_group_segment_fixed_size 0
		.amdhsa_private_segment_fixed_size 0
		.amdhsa_kernarg_size 0
		.amdhsa_user_sgpr_count 4
		.amdhsa_user_sgpr_private_segment_buffer 1
		.amdhsa_user_sgpr_dispatch_ptr 0
		.amdhsa_user_sgpr_queue_ptr 0
		.amdhsa_user_sgpr_kernarg_segment_ptr 0
		.amdhsa_user_sgpr_dispatch_id 0
		.amdhsa_user_sgpr_flat_scratch_init 0
		.amdhsa_user_sgpr_kernarg_preload_length 0
		.amdhsa_user_sgpr_kernarg_preload_offset 0
		.amdhsa_user_sgpr_private_segment_size 0
		.amdhsa_uses_dynamic_stack 0
		.amdhsa_system_sgpr_private_segment_wavefront_offset 0
		.amdhsa_system_sgpr_workgroup_id_x 1
		.amdhsa_system_sgpr_workgroup_id_y 0
		.amdhsa_system_sgpr_workgroup_id_z 0
		.amdhsa_system_sgpr_workgroup_info 0
		.amdhsa_system_vgpr_workitem_id 0
		.amdhsa_next_free_vgpr 1
		.amdhsa_next_free_sgpr 0
		.amdhsa_accum_offset 4
		.amdhsa_reserve_vcc 0
		.amdhsa_reserve_flat_scratch 0
		.amdhsa_float_round_mode_32 0
		.amdhsa_float_round_mode_16_64 0
		.amdhsa_float_denorm_mode_32 3
		.amdhsa_float_denorm_mode_16_64 3
		.amdhsa_dx10_clamp 1
		.amdhsa_ieee_mode 1
		.amdhsa_fp16_overflow 0
		.amdhsa_tg_split 0
		.amdhsa_exception_fp_ieee_invalid_op 0
		.amdhsa_exception_fp_denorm_src 0
		.amdhsa_exception_fp_ieee_div_zero 0
		.amdhsa_exception_fp_ieee_overflow 0
		.amdhsa_exception_fp_ieee_underflow 0
		.amdhsa_exception_fp_ieee_inexact 0
		.amdhsa_exception_int_div_zero 0
	.end_amdhsa_kernel
	.section	.text._ZN2ckL12flush_icacheEv,"axG",@progbits,_ZN2ckL12flush_icacheEv,comdat
.Lfunc_end0:
	.size	_ZN2ckL12flush_icacheEv, .Lfunc_end0-_ZN2ckL12flush_icacheEv
                                        ; -- End function
	.section	.AMDGPU.csdata,"",@progbits
; Kernel info:
; codeLenInByte = 140
; NumSgprs: 4
; NumVgprs: 0
; NumAgprs: 0
; TotalNumVgprs: 0
; ScratchSize: 0
; MemoryBound: 0
; FloatMode: 240
; IeeeMode: 1
; LDSByteSize: 0 bytes/workgroup (compile time only)
; SGPRBlocks: 0
; VGPRBlocks: 0
; NumSGPRsForWavesPerEU: 4
; NumVGPRsForWavesPerEU: 1
; AccumOffset: 4
; Occupancy: 8
; WaveLimiterHint : 0
; COMPUTE_PGM_RSRC2:SCRATCH_EN: 0
; COMPUTE_PGM_RSRC2:USER_SGPR: 4
; COMPUTE_PGM_RSRC2:TRAP_HANDLER: 0
; COMPUTE_PGM_RSRC2:TGID_X_EN: 1
; COMPUTE_PGM_RSRC2:TGID_Y_EN: 0
; COMPUTE_PGM_RSRC2:TGID_Z_EN: 0
; COMPUTE_PGM_RSRC2:TIDIG_COMP_CNT: 0
; COMPUTE_PGM_RSRC3_GFX90A:ACCUM_OFFSET: 0
; COMPUTE_PGM_RSRC3_GFX90A:TG_SPLIT: 0
	.text
	.p2align	2                               ; -- Begin function _ZN2ck32GridwiseGemmDlMultipleD_km_kn_mnILi256EffNS_5TupleIJfEEEfNS_16tensor_operation12element_wise11PassThroughES5_NS4_7AddReluELNS_25InMemoryDataOperationEnumE0ENS_16TensorDescriptorINS1_IJNS_5EmbedINS1_IJiiiEEESA_Lb0EEENS_11PassThroughIiEENS_3PadIiiiLb0EEESD_SD_NS9_INS1_IJiiEEESG_Lb0EEESD_NS_23Merge_v2_magic_divisionISG_EESJ_NS_8RightPadIiiLb0EEESL_NS_7UnMergeISG_Lb0EEESD_EEENS1_IJNS_8SequenceIJLi0EEEENSP_IJLi1EEEENSP_IJLi2EEEENSP_IJLi3EEEENSP_IJLi4EEEENSP_IJLi5EEEENSP_IJLi6EEEENSP_IJLi7ELi9EEEENSP_IJLi8ELi10EEEENSP_IJLi11EEEENSP_IJLi12EEEENSP_IJLi14EEEENSP_IJLi13EEEEEEENS1_IJNSP_IJLi1ELi2ELi3EEEESU_SV_SW_NSP_IJLi7EEEENSP_IJLi8ELi9EEEENSP_IJLi10EEEESZ_S10_S12_S11_NSP_IJLi15ELi16EEEENSP_IJLi17EEEEEEENSP_IJLi15ELi17ELi16EEEElEENS8_INS1_IJSN_SL_SL_SN_SD_EEENS1_IJSQ_SR_SS_SU_ST_EEENS1_IJNSP_IJLi1ELi2EEEEST_SU_NSP_IJLi5ELi6EEEES15_EEENSP_IJLi5ELi7ELi6EEEElEENS8_INS1_IJSH_SL_SL_EEENS1_IJSQ_SR_SS_EEENS1_IJS1F_ST_SU_EEENSP_IJLi3ELi4EEEElEELi128ELi128ELi16ELi1ELi4ELi4ELi1ENSP_IJLi8ELi2EEEES1P_NSP_IJLi8ELi1ELi1ELi1EEEENSP_IJLi2ELi1ELi128ELi1EEEENSP_IJLi1ELi2ELi0ELi3EEEES1S_NSP_IJLi4ELi1ELi1ELi1EEEES1S_NSP_IJLi1ELi1ELi1ELi1EEEES1Q_S1R_S1S_S1S_S1T_S1S_S1U_NSP_IJLi0ELi1ELi2ELi3ELi4ELi5EEEELi5ELi4EE3RunINS1_IJNS8_INS1_IJSH_SL_SL_NSM_INS1_IJiNS_17integral_constantIiLi2EEENS1Y_IiLi64EEEEEELb0EEES22_EEENS1_IJSQ_SR_SS_ST_SU_EEENS1_IJS1F_ST_SU_NSP_IJLi5ELi6ELi7EEEENSP_IJLi8ELi9ELi10EEEEEEENSP_IJLi5ELi6ELi7ELi8ELi9ELi10EEEElEEEEELb1ELb1ENS_31BlockToCTileMap_M00_N00_M01_N01ILi128ELi128ES1O_Lb0EEEEEvPKfS2E_NS1_IJS2E_EEEPfPvRKS5_S2J_RKS6_RKNS8_INS1_IJSB_SD_SF_SD_SD_SH_SD_SJ_SJ_SL_SL_SN_SD_SD_NSM_INS1_IJiNS1Y_IiLi128EEEEEELb0EEENSC_INS1Y_IiLi1EEEEEEEENS1_IJSQ_SR_SS_ST_SU_SV_SW_SX_SY_SZ_S10_S11_S12_NSP_IJLi15EEEES19_NSP_IJLi16EEEEEEENS1_IJS14_SU_SV_SW_S15_S16_S17_SZ_S10_S12_S11_S18_S19_NSP_IJLi18EEEENSP_IJLi19ELi20EEEENSP_IJLi21EEEEEEENSP_IJLi18ELi19ELi20ELi21EEEElEERKNS8_INS1_IJSN_SL_SL_SN_SD_SD_S2O_S2Q_EEENS1_IJSQ_SR_SS_SU_ST_SV_S15_SW_EEENS1_IJS1F_ST_SU_S1G_S15_NSP_IJLi8EEEENSP_IJLi9ELi10EEEESZ_EEENSP_IJLi8ELi9ELi10ELi11EEEElEERKT_RKS29_RKT2_NS1Y_IbXT0_EEENS1Y_IbXT1_EEE
	.type	_ZN2ck32GridwiseGemmDlMultipleD_km_kn_mnILi256EffNS_5TupleIJfEEEfNS_16tensor_operation12element_wise11PassThroughES5_NS4_7AddReluELNS_25InMemoryDataOperationEnumE0ENS_16TensorDescriptorINS1_IJNS_5EmbedINS1_IJiiiEEESA_Lb0EEENS_11PassThroughIiEENS_3PadIiiiLb0EEESD_SD_NS9_INS1_IJiiEEESG_Lb0EEESD_NS_23Merge_v2_magic_divisionISG_EESJ_NS_8RightPadIiiLb0EEESL_NS_7UnMergeISG_Lb0EEESD_EEENS1_IJNS_8SequenceIJLi0EEEENSP_IJLi1EEEENSP_IJLi2EEEENSP_IJLi3EEEENSP_IJLi4EEEENSP_IJLi5EEEENSP_IJLi6EEEENSP_IJLi7ELi9EEEENSP_IJLi8ELi10EEEENSP_IJLi11EEEENSP_IJLi12EEEENSP_IJLi14EEEENSP_IJLi13EEEEEEENS1_IJNSP_IJLi1ELi2ELi3EEEESU_SV_SW_NSP_IJLi7EEEENSP_IJLi8ELi9EEEENSP_IJLi10EEEESZ_S10_S12_S11_NSP_IJLi15ELi16EEEENSP_IJLi17EEEEEEENSP_IJLi15ELi17ELi16EEEElEENS8_INS1_IJSN_SL_SL_SN_SD_EEENS1_IJSQ_SR_SS_SU_ST_EEENS1_IJNSP_IJLi1ELi2EEEEST_SU_NSP_IJLi5ELi6EEEES15_EEENSP_IJLi5ELi7ELi6EEEElEENS8_INS1_IJSH_SL_SL_EEENS1_IJSQ_SR_SS_EEENS1_IJS1F_ST_SU_EEENSP_IJLi3ELi4EEEElEELi128ELi128ELi16ELi1ELi4ELi4ELi1ENSP_IJLi8ELi2EEEES1P_NSP_IJLi8ELi1ELi1ELi1EEEENSP_IJLi2ELi1ELi128ELi1EEEENSP_IJLi1ELi2ELi0ELi3EEEES1S_NSP_IJLi4ELi1ELi1ELi1EEEES1S_NSP_IJLi1ELi1ELi1ELi1EEEES1Q_S1R_S1S_S1S_S1T_S1S_S1U_NSP_IJLi0ELi1ELi2ELi3ELi4ELi5EEEELi5ELi4EE3RunINS1_IJNS8_INS1_IJSH_SL_SL_NSM_INS1_IJiNS_17integral_constantIiLi2EEENS1Y_IiLi64EEEEEELb0EEES22_EEENS1_IJSQ_SR_SS_ST_SU_EEENS1_IJS1F_ST_SU_NSP_IJLi5ELi6ELi7EEEENSP_IJLi8ELi9ELi10EEEEEEENSP_IJLi5ELi6ELi7ELi8ELi9ELi10EEEElEEEEELb1ELb1ENS_31BlockToCTileMap_M00_N00_M01_N01ILi128ELi128ES1O_Lb0EEEEEvPKfS2E_NS1_IJS2E_EEEPfPvRKS5_S2J_RKS6_RKNS8_INS1_IJSB_SD_SF_SD_SD_SH_SD_SJ_SJ_SL_SL_SN_SD_SD_NSM_INS1_IJiNS1Y_IiLi128EEEEEELb0EEENSC_INS1Y_IiLi1EEEEEEEENS1_IJSQ_SR_SS_ST_SU_SV_SW_SX_SY_SZ_S10_S11_S12_NSP_IJLi15EEEES19_NSP_IJLi16EEEEEEENS1_IJS14_SU_SV_SW_S15_S16_S17_SZ_S10_S12_S11_S18_S19_NSP_IJLi18EEEENSP_IJLi19ELi20EEEENSP_IJLi21EEEEEEENSP_IJLi18ELi19ELi20ELi21EEEElEERKNS8_INS1_IJSN_SL_SL_SN_SD_SD_S2O_S2Q_EEENS1_IJSQ_SR_SS_SU_ST_SV_S15_SW_EEENS1_IJS1F_ST_SU_S1G_S15_NSP_IJLi8EEEENSP_IJLi9ELi10EEEESZ_EEENSP_IJLi8ELi9ELi10ELi11EEEElEERKT_RKS29_RKT2_NS1Y_IbXT0_EEENS1Y_IbXT1_EEE,@function
_ZN2ck32GridwiseGemmDlMultipleD_km_kn_mnILi256EffNS_5TupleIJfEEEfNS_16tensor_operation12element_wise11PassThroughES5_NS4_7AddReluELNS_25InMemoryDataOperationEnumE0ENS_16TensorDescriptorINS1_IJNS_5EmbedINS1_IJiiiEEESA_Lb0EEENS_11PassThroughIiEENS_3PadIiiiLb0EEESD_SD_NS9_INS1_IJiiEEESG_Lb0EEESD_NS_23Merge_v2_magic_divisionISG_EESJ_NS_8RightPadIiiLb0EEESL_NS_7UnMergeISG_Lb0EEESD_EEENS1_IJNS_8SequenceIJLi0EEEENSP_IJLi1EEEENSP_IJLi2EEEENSP_IJLi3EEEENSP_IJLi4EEEENSP_IJLi5EEEENSP_IJLi6EEEENSP_IJLi7ELi9EEEENSP_IJLi8ELi10EEEENSP_IJLi11EEEENSP_IJLi12EEEENSP_IJLi14EEEENSP_IJLi13EEEEEEENS1_IJNSP_IJLi1ELi2ELi3EEEESU_SV_SW_NSP_IJLi7EEEENSP_IJLi8ELi9EEEENSP_IJLi10EEEESZ_S10_S12_S11_NSP_IJLi15ELi16EEEENSP_IJLi17EEEEEEENSP_IJLi15ELi17ELi16EEEElEENS8_INS1_IJSN_SL_SL_SN_SD_EEENS1_IJSQ_SR_SS_SU_ST_EEENS1_IJNSP_IJLi1ELi2EEEEST_SU_NSP_IJLi5ELi6EEEES15_EEENSP_IJLi5ELi7ELi6EEEElEENS8_INS1_IJSH_SL_SL_EEENS1_IJSQ_SR_SS_EEENS1_IJS1F_ST_SU_EEENSP_IJLi3ELi4EEEElEELi128ELi128ELi16ELi1ELi4ELi4ELi1ENSP_IJLi8ELi2EEEES1P_NSP_IJLi8ELi1ELi1ELi1EEEENSP_IJLi2ELi1ELi128ELi1EEEENSP_IJLi1ELi2ELi0ELi3EEEES1S_NSP_IJLi4ELi1ELi1ELi1EEEES1S_NSP_IJLi1ELi1ELi1ELi1EEEES1Q_S1R_S1S_S1S_S1T_S1S_S1U_NSP_IJLi0ELi1ELi2ELi3ELi4ELi5EEEELi5ELi4EE3RunINS1_IJNS8_INS1_IJSH_SL_SL_NSM_INS1_IJiNS_17integral_constantIiLi2EEENS1Y_IiLi64EEEEEELb0EEES22_EEENS1_IJSQ_SR_SS_ST_SU_EEENS1_IJS1F_ST_SU_NSP_IJLi5ELi6ELi7EEEENSP_IJLi8ELi9ELi10EEEEEEENSP_IJLi5ELi6ELi7ELi8ELi9ELi10EEEElEEEEELb1ELb1ENS_31BlockToCTileMap_M00_N00_M01_N01ILi128ELi128ES1O_Lb0EEEEEvPKfS2E_NS1_IJS2E_EEEPfPvRKS5_S2J_RKS6_RKNS8_INS1_IJSB_SD_SF_SD_SD_SH_SD_SJ_SJ_SL_SL_SN_SD_SD_NSM_INS1_IJiNS1Y_IiLi128EEEEEELb0EEENSC_INS1Y_IiLi1EEEEEEEENS1_IJSQ_SR_SS_ST_SU_SV_SW_SX_SY_SZ_S10_S11_S12_NSP_IJLi15EEEES19_NSP_IJLi16EEEEEEENS1_IJS14_SU_SV_SW_S15_S16_S17_SZ_S10_S12_S11_S18_S19_NSP_IJLi18EEEENSP_IJLi19ELi20EEEENSP_IJLi21EEEEEEENSP_IJLi18ELi19ELi20ELi21EEEElEERKNS8_INS1_IJSN_SL_SL_SN_SD_SD_S2O_S2Q_EEENS1_IJSQ_SR_SS_SU_ST_SV_S15_SW_EEENS1_IJS1F_ST_SU_S1G_S15_NSP_IJLi8EEEENSP_IJLi9ELi10EEEESZ_EEENSP_IJLi8ELi9ELi10ELi11EEEElEERKT_RKS29_RKT2_NS1Y_IbXT0_EEENS1Y_IbXT1_EEE: ; @_ZN2ck32GridwiseGemmDlMultipleD_km_kn_mnILi256EffNS_5TupleIJfEEEfNS_16tensor_operation12element_wise11PassThroughES5_NS4_7AddReluELNS_25InMemoryDataOperationEnumE0ENS_16TensorDescriptorINS1_IJNS_5EmbedINS1_IJiiiEEESA_Lb0EEENS_11PassThroughIiEENS_3PadIiiiLb0EEESD_SD_NS9_INS1_IJiiEEESG_Lb0EEESD_NS_23Merge_v2_magic_divisionISG_EESJ_NS_8RightPadIiiLb0EEESL_NS_7UnMergeISG_Lb0EEESD_EEENS1_IJNS_8SequenceIJLi0EEEENSP_IJLi1EEEENSP_IJLi2EEEENSP_IJLi3EEEENSP_IJLi4EEEENSP_IJLi5EEEENSP_IJLi6EEEENSP_IJLi7ELi9EEEENSP_IJLi8ELi10EEEENSP_IJLi11EEEENSP_IJLi12EEEENSP_IJLi14EEEENSP_IJLi13EEEEEEENS1_IJNSP_IJLi1ELi2ELi3EEEESU_SV_SW_NSP_IJLi7EEEENSP_IJLi8ELi9EEEENSP_IJLi10EEEESZ_S10_S12_S11_NSP_IJLi15ELi16EEEENSP_IJLi17EEEEEEENSP_IJLi15ELi17ELi16EEEElEENS8_INS1_IJSN_SL_SL_SN_SD_EEENS1_IJSQ_SR_SS_SU_ST_EEENS1_IJNSP_IJLi1ELi2EEEEST_SU_NSP_IJLi5ELi6EEEES15_EEENSP_IJLi5ELi7ELi6EEEElEENS8_INS1_IJSH_SL_SL_EEENS1_IJSQ_SR_SS_EEENS1_IJS1F_ST_SU_EEENSP_IJLi3ELi4EEEElEELi128ELi128ELi16ELi1ELi4ELi4ELi1ENSP_IJLi8ELi2EEEES1P_NSP_IJLi8ELi1ELi1ELi1EEEENSP_IJLi2ELi1ELi128ELi1EEEENSP_IJLi1ELi2ELi0ELi3EEEES1S_NSP_IJLi4ELi1ELi1ELi1EEEES1S_NSP_IJLi1ELi1ELi1ELi1EEEES1Q_S1R_S1S_S1S_S1T_S1S_S1U_NSP_IJLi0ELi1ELi2ELi3ELi4ELi5EEEELi5ELi4EE3RunINS1_IJNS8_INS1_IJSH_SL_SL_NSM_INS1_IJiNS_17integral_constantIiLi2EEENS1Y_IiLi64EEEEEELb0EEES22_EEENS1_IJSQ_SR_SS_ST_SU_EEENS1_IJS1F_ST_SU_NSP_IJLi5ELi6ELi7EEEENSP_IJLi8ELi9ELi10EEEEEEENSP_IJLi5ELi6ELi7ELi8ELi9ELi10EEEElEEEEELb1ELb1ENS_31BlockToCTileMap_M00_N00_M01_N01ILi128ELi128ES1O_Lb0EEEEEvPKfS2E_NS1_IJS2E_EEEPfPvRKS5_S2J_RKS6_RKNS8_INS1_IJSB_SD_SF_SD_SD_SH_SD_SJ_SJ_SL_SL_SN_SD_SD_NSM_INS1_IJiNS1Y_IiLi128EEEEEELb0EEENSC_INS1Y_IiLi1EEEEEEEENS1_IJSQ_SR_SS_ST_SU_SV_SW_SX_SY_SZ_S10_S11_S12_NSP_IJLi15EEEES19_NSP_IJLi16EEEEEEENS1_IJS14_SU_SV_SW_S15_S16_S17_SZ_S10_S12_S11_S18_S19_NSP_IJLi18EEEENSP_IJLi19ELi20EEEENSP_IJLi21EEEEEEENSP_IJLi18ELi19ELi20ELi21EEEElEERKNS8_INS1_IJSN_SL_SL_SN_SD_SD_S2O_S2Q_EEENS1_IJSQ_SR_SS_SU_ST_SV_S15_SW_EEENS1_IJS1F_ST_SU_S1G_S15_NSP_IJLi8EEEENSP_IJLi9ELi10EEEESZ_EEENSP_IJLi8ELi9ELi10ELi11EEEElEERKT_RKS29_RKT2_NS1Y_IbXT0_EEENS1Y_IbXT1_EEE
; %bb.0:
	s_waitcnt vmcnt(0) expcnt(0) lgkmcnt(0)
	v_accvgpr_write_b32 a4, v12
	v_accvgpr_write_b32 a5, v13
	v_mov_b32_e32 v21, v5
	v_mov_b32_e32 v20, v4
	flat_load_dwordx4 v[24:27], v[16:17] offset:68
	flat_load_dword v12, v[8:9] offset:156
	flat_load_dword v35, v[10:11] offset:48
	;; [unrolled: 1-line block ×5, first 2 shown]
	flat_load_dwordx4 v[52:55], v[16:17] offset:88
	flat_load_dwordx4 v[64:67], v[16:17] offset:48
	flat_load_dword v81, v[8:9] offset:116
	flat_load_dword v68, v[8:9] offset:128
	;; [unrolled: 1-line block ×3, first 2 shown]
	flat_load_dwordx2 v[4:5], v[8:9] offset:56
	flat_load_dwordx3 v[28:30], v[8:9] offset:12
	flat_load_dword v36, v[16:17] offset:36
	flat_load_dword v37, v[16:17] offset:20
                                        ; kill: killed $vgpr16 killed $vgpr17
	flat_load_dword v38, v[10:11] offset:88
	flat_load_dword v69, v[10:11] offset:8
	;; [unrolled: 1-line block ×5, first 2 shown]
	flat_load_dwordx3 v[32:34], v[8:9] offset:28
	flat_load_dwordx2 a[2:3], v[14:15] offset:72
	v_mov_b32_e32 v22, v0
	v_and_b32_e32 v0, 0x3ff, v31
	v_mov_b32_e32 v23, v1
	v_accvgpr_write_b32 a0, v14
	v_lshrrev_b32_e32 v16, 5, v0
	v_lshlrev_b32_e32 v1, 1, v0
	v_accvgpr_write_b32 a1, v15
	v_lshlrev_b32_e32 v17, 2, v0
	v_lshrrev_b32_e32 v14, 1, v0
	v_lshlrev_b32_e32 v0, 3, v0
	v_lshlrev_b32_e32 v18, 6, v16
	v_and_b32_e32 v31, 0x1f8, v1
	v_and_b32_e32 v49, 0x1fc, v1
	;; [unrolled: 1-line block ×3, first 2 shown]
	v_sub_u32_e32 v0, v31, v18
	v_sub_u32_e32 v18, v49, v31
	v_lshl_add_u32 v93, v16, 3, v18
	v_and_or_b32 v94, v17, 4, v0
	s_mov_b32 s20, 0
	s_mov_b64 s[10:11], exec
	s_waitcnt vmcnt(0) lgkmcnt(0)
	v_mul_hi_u32 v16, v27, s12
	v_mul_lo_u32 v49, v12, v1
	v_add_u32_e32 v16, s12, v16
	v_mul_lo_u32 v0, v35, v1
	v_mul_hi_u32 v17, v49, v13
	v_cmp_lt_i32_e64 s[4:5], v49, v39
	v_lshrrev_b32_e32 v27, v55, v16
	v_add_u32_e32 v16, v49, v17
	v_mul_hi_u32 v17, v27, v26
	v_add_u32_e32 v17, v27, v17
	v_lshrrev_b32_e32 v17, v54, v17
	v_lshrrev_b32_e32 v50, v81, v16
	v_mul_hi_u32 v25, v17, v25
	v_mul_lo_u32 v26, v50, v48
	v_add_u32_e32 v25, v17, v25
	v_sub_u32_e32 v51, v49, v26
	v_mul_lo_u32 v26, v17, v66
	v_lshrrev_b32_e32 v25, v53, v25
	v_mul_lo_u32 v18, v27, v67
	v_sub_u32_e32 v26, v27, v26
	v_mul_hi_u32 v24, v25, v24
	v_mul_lo_u32 v27, v25, v65
	v_sub_u32_e32 v16, s12, v18
	v_add_u32_e32 v24, v25, v24
	v_sub_u32_e32 v17, v17, v27
	v_lshrrev_b32_e32 v24, v52, v24
	v_mad_u64_u32 v[16:17], s[6:7], v17, v36, v[16:17]
	v_mul_lo_u32 v17, v24, v64
	v_readfirstlane_b32 s18, v16
	v_sub_u32_e32 v16, v25, v17
	v_mad_u64_u32 v[16:17], s[6:7], v16, v37, v[26:27]
	v_lshl_or_b32 v15, s18, 7, v14
	v_readfirstlane_b32 s19, v16
	v_accvgpr_write_b32 a9, v15
	v_mad_u64_u32 v[26:27], s[6:7], v69, v15, v[0:1]
	v_lshl_or_b32 v15, s19, 7, v14
	v_mul_hi_u32 v16, v70, v15
	v_add_u32_e32 v16, v15, v16
	v_lshrrev_b32_e32 v16, v71, v16
	v_mul_lo_u32 v17, v16, v80
	v_mul_lo_u32 v18, v50, v4
	v_sub_u32_e32 v17, v15, v17
	v_mad_u64_u32 v[36:37], s[6:7], v17, v5, v[18:19]
	v_sub_u32_e32 v5, v36, v33
	v_mul_lo_u32 v31, v30, v51
	v_mul_lo_u32 v16, v16, v28
	;; [unrolled: 1-line block ×3, first 2 shown]
	v_add3_u32 v37, v31, v16, v5
	v_sub_u32_e32 v5, v32, v34
	v_cmp_ge_i32_e64 s[6:7], v36, v33
	v_cmp_gt_i32_e64 s[8:9], v5, v36
	s_and_b64 s[6:7], s[6:7], s[8:9]
	v_cmp_lt_i32_e32 vcc, v15, v68
	s_and_b64 s[4:5], s[4:5], s[6:7]
	v_accvgpr_write_b32 a10, v15
	s_and_b64 s[4:5], vcc, s[4:5]
	v_lshlrev_b32_e32 v24, 2, v19
	v_mov_b32_e32 v25, 0x20000
	v_lshlrev_b32_e32 v27, 2, v37
.LBB1_1:                                ; =>This Inner Loop Header: Depth=1
	v_readfirstlane_b32 s12, v22
	v_readfirstlane_b32 s13, v23
	v_readfirstlane_b32 s14, v24
	v_readfirstlane_b32 s15, v25
	v_cmp_eq_u64_e64 s[6:7], s[12:13], v[22:23]
	v_cmp_eq_u64_e64 s[8:9], s[14:15], v[24:25]
	s_and_b64 s[6:7], s[6:7], s[8:9]
	s_and_saveexec_b64 s[6:7], s[6:7]
	s_nop 0
	buffer_load_dwordx4 v[16:19], v27, s[12:15], 0 offen
                                        ; implicit-def: $vgpr27
	s_xor_b64 exec, exec, s[6:7]
	s_cbranch_execnz .LBB1_1
; %bb.2:
	s_mov_b64 exec, s[10:11]
	v_lshl_add_u32 v117, v12, 2, v49
	v_mul_hi_u32 v12, v13, v117
	v_add_u32_e32 v12, v117, v12
	v_lshrrev_b32_e32 v15, v81, v12
	s_waitcnt vmcnt(0)
	v_cndmask_b32_e64 v32, 0, v16, s[4:5]
	v_sub_u32_e32 v16, v15, v50
	v_mul_lo_u32 v12, v15, v48
	v_mul_lo_u32 v4, v16, v4
	v_sub_u32_e32 v12, v117, v12
	v_add_u32_e32 v116, v36, v4
	v_sub_u32_e32 v13, v12, v51
	v_cmp_le_i32_e64 s[6:7], v33, v116
	v_cmp_gt_i32_e64 s[8:9], v5, v116
	v_cndmask_b32_e64 v27, 0, v19, s[4:5]
	v_cndmask_b32_e64 v28, 0, v18, s[4:5]
	;; [unrolled: 1-line block ×3, first 2 shown]
	v_mul_lo_u32 v4, v4, v29
	v_mul_lo_u32 v13, v30, v13
	v_cmp_lt_i32_e64 s[4:5], v117, v39
	s_and_b64 s[6:7], s[6:7], s[8:9]
	v_add3_u32 v13, v13, v4, v37
	s_and_b64 s[4:5], s[4:5], s[6:7]
	v_lshlrev_b32_e32 v4, 2, v13
	s_and_b64 vcc, vcc, s[4:5]
	s_mov_b64 s[12:13], exec
.LBB1_3:                                ; =>This Inner Loop Header: Depth=1
	v_readfirstlane_b32 s8, v22
	v_readfirstlane_b32 s9, v23
	;; [unrolled: 1-line block ×4, first 2 shown]
	v_cmp_eq_u64_e64 s[4:5], s[8:9], v[22:23]
	v_cmp_eq_u64_e64 s[6:7], s[10:11], v[24:25]
	s_and_b64 s[4:5], s[4:5], s[6:7]
	s_and_saveexec_b64 s[4:5], s[4:5]
	s_nop 0
	buffer_load_dwordx4 v[16:19], v4, s[8:11], 0 offen
                                        ; implicit-def: $vgpr4
	s_xor_b64 exec, exec, s[4:5]
	s_cbranch_execnz .LBB1_3
; %bb.4:
	s_mov_b64 exec, s[12:13]
	flat_load_dword v39, v[10:11] offset:32
	flat_load_dword v37, v[10:11] offset:20
	s_waitcnt vmcnt(0)
	v_cndmask_b32_e32 v34, 0, v16, vcc
	v_accvgpr_read_b32 v16, a9
	v_cndmask_b32_e32 v29, 0, v19, vcc
	v_cndmask_b32_e32 v30, 0, v18, vcc
	;; [unrolled: 1-line block ×3, first 2 shown]
	v_lshlrev_b32_e32 v4, 2, v38
	v_mov_b32_e32 v5, 0x20000
	v_lshlrev_b32_e32 v36, 2, v26
	s_mov_b64 s[10:11], exec
	s_waitcnt lgkmcnt(0)
	v_cmp_gt_i32_e64 s[4:5], v39, v0
	v_cmp_gt_i32_e32 vcc, v37, v16
	s_and_b64 s[4:5], vcc, s[4:5]
.LBB1_5:                                ; =>This Inner Loop Header: Depth=1
	v_readfirstlane_b32 s12, v2
	v_readfirstlane_b32 s13, v3
	;; [unrolled: 1-line block ×4, first 2 shown]
	v_cmp_eq_u64_e64 s[6:7], s[12:13], v[2:3]
	v_cmp_eq_u64_e64 s[8:9], s[14:15], v[4:5]
	s_and_b64 s[6:7], s[6:7], s[8:9]
	s_and_saveexec_b64 s[6:7], s[6:7]
	s_nop 0
	buffer_load_dwordx4 v[16:19], v36, s[12:15], 0 offen
                                        ; implicit-def: $vgpr36
	s_xor_b64 exec, exec, s[6:7]
	s_cbranch_execnz .LBB1_5
; %bb.6:
	s_mov_b64 exec, s[10:11]
	s_waitcnt vmcnt(0)
	v_cndmask_b32_e64 v49, 0, v16, s[4:5]
	v_lshlrev_b32_e32 v16, 2, v35
	v_add_u32_e32 v92, v16, v0
	v_cndmask_b32_e64 v36, 0, v19, s[4:5]
	v_cndmask_b32_e64 v37, 0, v18, s[4:5]
	;; [unrolled: 1-line block ×3, first 2 shown]
	v_add_u32_e32 v106, v26, v16
	v_cmp_gt_i32_e64 s[4:5], v39, v92
	v_lshlrev_b32_e32 v0, 2, v106
	s_and_b64 vcc, vcc, s[4:5]
	s_mov_b64 s[12:13], exec
.LBB1_7:                                ; =>This Inner Loop Header: Depth=1
	v_readfirstlane_b32 s8, v2
	v_readfirstlane_b32 s9, v3
	;; [unrolled: 1-line block ×4, first 2 shown]
	v_cmp_eq_u64_e64 s[4:5], s[8:9], v[2:3]
	v_cmp_eq_u64_e64 s[6:7], s[10:11], v[4:5]
	s_and_b64 s[4:5], s[4:5], s[6:7]
	s_and_saveexec_b64 s[4:5], s[4:5]
	s_nop 0
	buffer_load_dwordx4 v[16:19], v0, s[8:11], 0 offen
                                        ; implicit-def: $vgpr0
	s_xor_b64 exec, exec, s[4:5]
	s_cbranch_execnz .LBB1_7
; %bb.8:
	s_mov_b64 exec, s[12:13]
	flat_load_dword v0, v[8:9] offset:168
	v_lshlrev_b32_e32 v14, 2, v14
	v_lshl_or_b32 v95, v1, 9, v14
	s_mov_b64 s[16:17], 0
	v_mov_b32_e32 v60, 0
	v_mov_b32_e32 v61, 0
	;; [unrolled: 1-line block ×64, first 2 shown]
	v_or_b32_e32 v109, 0x4000, v95
	v_accvgpr_write_b32 a6, v93
	v_lshlrev_b32_e32 v93, 2, v93
	v_accvgpr_write_b32 a3, v94
	v_lshlrev_b32_e32 v94, 2, v94
	v_mov_b32_e32 v108, v117
	s_waitcnt vmcnt(0)
	v_cndmask_b32_e32 v19, 0, v19, vcc
	v_cndmask_b32_e32 v18, 0, v18, vcc
	;; [unrolled: 1-line block ×4, first 2 shown]
	ds_write2st64_b32 v95, v32, v31 offset1:2
	ds_write2st64_b32 v95, v28, v27 offset0:4 offset1:6
	ds_write2st64_b32 v95, v34, v33 offset0:8 offset1:10
	;; [unrolled: 1-line block ×7, first 2 shown]
	s_waitcnt lgkmcnt(0)
	v_subrev_u32_e32 v0, 32, v0
	v_accvgpr_write_b32 a11, v0
	v_or_b32_e32 v0, 0x2000, v95
	v_accvgpr_write_b32 a8, v0
	v_or_b32_e32 v0, 0x6000, v95
	v_accvgpr_write_b32 a7, v0
.LBB1_9:                                ; =>This Loop Header: Depth=1
                                        ;     Child Loop BB1_10 Depth 2
                                        ;     Child Loop BB1_12 Depth 2
                                        ;     Child Loop BB1_14 Depth 2
                                        ;     Child Loop BB1_16 Depth 2
                                        ;     Child Loop BB1_18 Depth 2
                                        ;     Child Loop BB1_20 Depth 2
                                        ;     Child Loop BB1_22 Depth 2
                                        ;     Child Loop BB1_24 Depth 2
	flat_load_dword v29, v[8:9] offset:156
	flat_load_dword v14, v[10:11] offset:48
	;; [unrolled: 1-line block ×3, first 2 shown]
	flat_load_dwordx3 v[26:28], v[8:9] offset:28
	flat_load_dword v33, v[8:9] offset:108
	flat_load_dword v30, v[8:9] offset:140
	;; [unrolled: 1-line block ×5, first 2 shown]
	flat_load_dwordx2 v[0:1], v[8:9] offset:16
	v_accvgpr_read_b32 v19, a10
	s_mov_b64 s[10:11], exec
	s_waitcnt vmcnt(0) lgkmcnt(0)
	v_mul_lo_u32 v17, v29, 12
	v_add_u32_e32 v48, v17, v117
	v_cmp_lt_i32_e32 vcc, v19, v16
	v_add_u32_e32 v37, v17, v108
	v_mul_hi_u32 v16, v48, v33
	v_add_u32_e32 v16, v48, v16
	v_lshrrev_b32_e32 v36, v34, v16
	v_mul_lo_u32 v16, v36, v35
	v_sub_u32_e32 v17, v36, v15
	v_sub_u32_e32 v15, v48, v16
	v_mul_lo_u32 v16, v17, v32
	v_sub_u32_e32 v31, v26, v28
	v_sub_u32_e32 v17, v15, v12
	v_add_u32_e32 v12, v16, v116
	v_cmp_le_i32_e64 s[6:7], v27, v12
	v_cmp_gt_i32_e64 s[8:9], v31, v12
	v_cmp_lt_i32_e64 s[4:5], v37, v30
	v_mul_lo_u32 v16, v16, v0
	v_mul_lo_u32 v17, v17, v1
	s_and_b64 s[6:7], s[6:7], s[8:9]
	v_mul_lo_u32 v18, v14, 12
	v_add3_u32 v13, v16, v13, v17
	s_and_b64 s[4:5], s[4:5], s[6:7]
	v_add_u32_e32 v26, v18, v92
	v_add_u32_e32 v28, v18, v106
	v_lshlrev_b32_e32 v49, 2, v13
	s_and_b64 s[4:5], vcc, s[4:5]
.LBB1_10:                               ;   Parent Loop BB1_9 Depth=1
                                        ; =>  This Inner Loop Header: Depth=2
	v_readfirstlane_b32 s12, v22
	v_readfirstlane_b32 s13, v23
	;; [unrolled: 1-line block ×4, first 2 shown]
	v_cmp_eq_u64_e64 s[6:7], s[12:13], v[22:23]
	v_cmp_eq_u64_e64 s[8:9], s[14:15], v[24:25]
	s_and_b64 s[6:7], s[6:7], s[8:9]
	s_and_saveexec_b64 s[6:7], s[6:7]
	s_nop 0
	buffer_load_dwordx4 v[16:19], v49, s[12:15], 0 offen
                                        ; implicit-def: $vgpr49
	s_xor_b64 exec, exec, s[6:7]
	s_cbranch_execnz .LBB1_10
; %bb.11:                               ;   in Loop: Header=BB1_9 Depth=1
	s_mov_b64 exec, s[10:11]
	s_waitcnt vmcnt(0)
	v_cndmask_b32_e64 v124, 0, v16, s[4:5]
	v_lshlrev_b32_e32 v16, 2, v29
	v_add_u32_e32 v121, v16, v48
	v_add_u32_e32 v120, v16, v37
	v_mul_hi_u32 v16, v121, v33
	v_add_u32_e32 v16, v121, v16
	v_lshrrev_b32_e32 v110, v34, v16
	v_mul_lo_u32 v16, v110, v35
	v_sub_u32_e32 v111, v121, v16
	v_sub_u32_e32 v16, v110, v36
	v_mul_lo_u32 v16, v16, v32
	v_add_u32_e32 v122, v16, v12
	v_sub_u32_e32 v15, v111, v15
	v_cmp_le_i32_e64 s[6:7], v27, v122
	v_cmp_gt_i32_e64 s[8:9], v31, v122
	v_cndmask_b32_e64 v125, 0, v19, s[4:5]
	v_cndmask_b32_e64 v126, 0, v18, s[4:5]
	;; [unrolled: 1-line block ×3, first 2 shown]
	v_mul_lo_u32 v0, v16, v0
	v_mul_lo_u32 v1, v15, v1
	v_cmp_lt_i32_e64 s[4:5], v120, v30
	s_and_b64 s[6:7], s[6:7], s[8:9]
	v_add3_u32 v123, v0, v13, v1
	s_and_b64 s[4:5], s[4:5], s[6:7]
	v_lshlrev_b32_e32 v0, 2, v123
	s_and_b64 vcc, vcc, s[4:5]
	s_mov_b64 s[12:13], exec
.LBB1_12:                               ;   Parent Loop BB1_9 Depth=1
                                        ; =>  This Inner Loop Header: Depth=2
	v_readfirstlane_b32 s8, v22
	v_readfirstlane_b32 s9, v23
	;; [unrolled: 1-line block ×4, first 2 shown]
	v_cmp_eq_u64_e64 s[4:5], s[8:9], v[22:23]
	v_cmp_eq_u64_e64 s[6:7], s[10:11], v[24:25]
	s_and_b64 s[4:5], s[4:5], s[6:7]
	s_and_saveexec_b64 s[4:5], s[4:5]
	s_nop 0
	buffer_load_dwordx4 v[16:19], v0, s[8:11], 0 offen
                                        ; implicit-def: $vgpr0
	s_xor_b64 exec, exec, s[4:5]
	s_cbranch_execnz .LBB1_12
; %bb.13:                               ;   in Loop: Header=BB1_9 Depth=1
	s_mov_b64 exec, s[12:13]
	flat_load_dword v27, v[10:11] offset:32
	flat_load_dword v13, v[10:11] offset:20
	v_accvgpr_read_b32 v15, a9
	s_waitcnt vmcnt(0)
	v_cndmask_b32_e32 v0, 0, v19, vcc
	v_cndmask_b32_e32 v1, 0, v18, vcc
	v_cndmask_b32_e32 v116, 0, v17, vcc
	v_cndmask_b32_e32 v108, 0, v16, vcc
	v_lshlrev_b32_e32 v12, 2, v28
	s_mov_b64 s[10:11], exec
	s_waitcnt lgkmcnt(0)
	v_cmp_gt_i32_e64 s[4:5], v27, v26
	v_cmp_gt_i32_e32 vcc, v13, v15
	s_and_b64 s[4:5], vcc, s[4:5]
.LBB1_14:                               ;   Parent Loop BB1_9 Depth=1
                                        ; =>  This Inner Loop Header: Depth=2
	v_readfirstlane_b32 s12, v2
	v_readfirstlane_b32 s13, v3
	;; [unrolled: 1-line block ×4, first 2 shown]
	v_cmp_eq_u64_e64 s[6:7], s[12:13], v[2:3]
	v_cmp_eq_u64_e64 s[8:9], s[14:15], v[4:5]
	s_and_b64 s[6:7], s[6:7], s[8:9]
	s_and_saveexec_b64 s[6:7], s[6:7]
	s_nop 0
	buffer_load_dwordx4 v[16:19], v12, s[12:15], 0 offen
                                        ; implicit-def: $vgpr12
	s_xor_b64 exec, exec, s[6:7]
	s_cbranch_execnz .LBB1_14
; %bb.15:                               ;   in Loop: Header=BB1_9 Depth=1
	s_mov_b64 exec, s[10:11]
	v_lshlrev_b32_e32 v14, 2, v14
	v_add_u32_e32 v117, v14, v26
	s_waitcnt vmcnt(0)
	v_cndmask_b32_e64 v13, 0, v19, s[4:5]
	v_cndmask_b32_e64 v12, 0, v18, s[4:5]
	;; [unrolled: 1-line block ×4, first 2 shown]
	v_add_u32_e32 v92, v14, v28
	v_cmp_gt_i32_e64 s[4:5], v27, v117
	v_lshlrev_b32_e32 v14, 2, v92
	s_and_b64 vcc, vcc, s[4:5]
	s_mov_b64 s[12:13], exec
.LBB1_16:                               ;   Parent Loop BB1_9 Depth=1
                                        ; =>  This Inner Loop Header: Depth=2
	v_readfirstlane_b32 s8, v2
	v_readfirstlane_b32 s9, v3
	;; [unrolled: 1-line block ×4, first 2 shown]
	v_cmp_eq_u64_e64 s[4:5], s[8:9], v[2:3]
	v_cmp_eq_u64_e64 s[6:7], s[10:11], v[4:5]
	s_and_b64 s[4:5], s[4:5], s[6:7]
	s_and_saveexec_b64 s[4:5], s[4:5]
	s_nop 0
	buffer_load_dwordx4 v[16:19], v14, s[8:11], 0 offen
                                        ; implicit-def: $vgpr14
	s_xor_b64 exec, exec, s[4:5]
	s_cbranch_execnz .LBB1_16
; %bb.17:                               ;   in Loop: Header=BB1_9 Depth=1
	s_mov_b64 exec, s[12:13]
	s_waitcnt lgkmcnt(0)
	s_barrier
	ds_read_b128 v[30:33], v93
	ds_read_b128 v[34:37], v94 offset:16384
	ds_read_b128 v[26:29], v94 offset:16640
	;; [unrolled: 1-line block ×3, first 2 shown]
	s_waitcnt vmcnt(0)
	v_cndmask_b32_e32 v14, 0, v16, vcc
	s_waitcnt lgkmcnt(2)
	;;#ASMSTART
	
             v_fmac_f32 v90, v30, v34 
             
	;;#ASMEND
	;;#ASMSTART
	
             v_fmac_f32 v91, v30, v35 
             
	;;#ASMEND
	;; [unrolled: 5-line block ×16, first 2 shown]
	s_waitcnt lgkmcnt(1)
	;;#ASMSTART
	
             v_fmac_f32 v88, v30, v26 
             
	;;#ASMEND
	;;#ASMSTART
	
             v_fmac_f32 v89, v30, v27 
             
	;;#ASMEND
	;; [unrolled: 5-line block ×16, first 2 shown]
	ds_read_b128 v[30:33], v93 offset:512
	s_waitcnt lgkmcnt(1)
	;;#ASMSTART
	
             v_fmac_f32 v60, v48, v34 
             
	;;#ASMEND
	;;#ASMSTART
	
             v_fmac_f32 v61, v48, v35 
             
	;;#ASMEND
	;; [unrolled: 5-line block ×16, first 2 shown]
	ds_read_b128 v[34:37], v94 offset:16896
	;;#ASMSTART
	
             v_fmac_f32 v56, v48, v26 
             
	;;#ASMEND
	;;#ASMSTART
	
             v_fmac_f32 v57, v48, v27 
             
	;;#ASMEND
	;;#ASMSTART
	
             v_fmac_f32 v46, v48, v28 
             
	;;#ASMEND
	;;#ASMSTART
	
             v_fmac_f32 v47, v48, v29 
             
	;;#ASMEND
	;;#ASMSTART
	
             v_fmac_f32 v86, v49, v26 
             
	;;#ASMEND
	;;#ASMSTART
	
             v_fmac_f32 v87, v49, v27 
             
	;;#ASMEND
	;;#ASMSTART
	
             v_fmac_f32 v84, v49, v28 
             
	;;#ASMEND
	;;#ASMSTART
	
             v_fmac_f32 v85, v49, v29 
             
	;;#ASMEND
	;;#ASMSTART
	
             v_fmac_f32 v102, v50, v26 
             
	;;#ASMEND
	;;#ASMSTART
	
             v_fmac_f32 v103, v50, v27 
             
	;;#ASMEND
	;;#ASMSTART
	
             v_fmac_f32 v100, v50, v28 
             
	;;#ASMEND
	;;#ASMSTART
	
             v_fmac_f32 v101, v50, v29 
             
	;;#ASMEND
	;;#ASMSTART
	
             v_fmac_f32 v118, v51, v26 
             
	;;#ASMEND
	;;#ASMSTART
	
             v_fmac_f32 v119, v51, v27 
             
	;;#ASMEND
	;;#ASMSTART
	
             v_fmac_f32 v40, v51, v28 
             
	;;#ASMEND
	;;#ASMSTART
	
             v_fmac_f32 v41, v51, v29 
             
	;;#ASMEND
	ds_read_b128 v[26:29], v94 offset:17152
	ds_read_b128 v[48:51], v93 offset:768
	s_waitcnt lgkmcnt(2)
	;;#ASMSTART
	
             v_fmac_f32 v90, v30, v34 
             
	;;#ASMEND
	;;#ASMSTART
	
             v_fmac_f32 v91, v30, v35 
             
	;;#ASMEND
	;; [unrolled: 5-line block ×16, first 2 shown]
	s_waitcnt lgkmcnt(1)
	;;#ASMSTART
	
             v_fmac_f32 v88, v30, v26 
             
	;;#ASMEND
	;;#ASMSTART
	
             v_fmac_f32 v89, v30, v27 
             
	;;#ASMEND
	;; [unrolled: 5-line block ×16, first 2 shown]
	ds_read_b128 v[30:33], v93 offset:1024
	s_waitcnt lgkmcnt(1)
	;;#ASMSTART
	
             v_fmac_f32 v60, v48, v34 
             
	;;#ASMEND
	;;#ASMSTART
	
             v_fmac_f32 v61, v48, v35 
             
	;;#ASMEND
	;; [unrolled: 5-line block ×16, first 2 shown]
	ds_read_b128 v[34:37], v94 offset:17408
	;;#ASMSTART
	
             v_fmac_f32 v56, v48, v26 
             
	;;#ASMEND
	;;#ASMSTART
	
             v_fmac_f32 v57, v48, v27 
             
	;;#ASMEND
	;; [unrolled: 5-line block ×16, first 2 shown]
	ds_read_b128 v[26:29], v94 offset:17664
	ds_read_b128 v[48:51], v93 offset:1280
	s_waitcnt lgkmcnt(2)
	;;#ASMSTART
	
             v_fmac_f32 v90, v30, v34 
             
	;;#ASMEND
	;;#ASMSTART
	
             v_fmac_f32 v91, v30, v35 
             
	;;#ASMEND
	;; [unrolled: 5-line block ×16, first 2 shown]
	s_waitcnt lgkmcnt(1)
	;;#ASMSTART
	
             v_fmac_f32 v88, v30, v26 
             
	;;#ASMEND
	;;#ASMSTART
	
             v_fmac_f32 v89, v30, v27 
             
	;;#ASMEND
	;; [unrolled: 5-line block ×16, first 2 shown]
	ds_read_b128 v[30:33], v93 offset:1536
	s_waitcnt lgkmcnt(1)
	;;#ASMSTART
	
             v_fmac_f32 v60, v48, v34 
             
	;;#ASMEND
	;;#ASMSTART
	
             v_fmac_f32 v61, v48, v35 
             
	;;#ASMEND
	;; [unrolled: 5-line block ×16, first 2 shown]
	ds_read_b128 v[34:37], v94 offset:17920
	;;#ASMSTART
	
             v_fmac_f32 v56, v48, v26 
             
	;;#ASMEND
	;;#ASMSTART
	
             v_fmac_f32 v57, v48, v27 
             
	;;#ASMEND
	;; [unrolled: 5-line block ×16, first 2 shown]
	ds_read_b128 v[26:29], v94 offset:18176
	ds_read_b128 v[48:51], v93 offset:1792
	s_waitcnt lgkmcnt(2)
	;;#ASMSTART
	
             v_fmac_f32 v90, v30, v34 
             
	;;#ASMEND
	;;#ASMSTART
	
             v_fmac_f32 v91, v30, v35 
             
	;;#ASMEND
	;; [unrolled: 5-line block ×16, first 2 shown]
	s_waitcnt lgkmcnt(1)
	;;#ASMSTART
	
             v_fmac_f32 v88, v30, v26 
             
	;;#ASMEND
	;;#ASMSTART
	
             v_fmac_f32 v89, v30, v27 
             
	;;#ASMEND
	;; [unrolled: 5-line block ×16, first 2 shown]
	ds_read_b128 v[30:33], v93 offset:2048
	s_waitcnt lgkmcnt(1)
	;;#ASMSTART
	
             v_fmac_f32 v60, v48, v34 
             
	;;#ASMEND
	;;#ASMSTART
	
             v_fmac_f32 v61, v48, v35 
             
	;;#ASMEND
	;;#ASMSTART
	
             v_fmac_f32 v58, v48, v36 
             
	;;#ASMEND
	;;#ASMSTART
	
             v_fmac_f32 v59, v48, v37 
             
	;;#ASMEND
	;;#ASMSTART
	
             v_fmac_f32 v44, v49, v34 
             
	;;#ASMEND
	;;#ASMSTART
	
             v_fmac_f32 v45, v49, v35 
             
	;;#ASMEND
	;;#ASMSTART
	
             v_fmac_f32 v42, v49, v36 
             
	;;#ASMEND
	;;#ASMSTART
	
             v_fmac_f32 v43, v49, v37 
             
	;;#ASMEND
	;;#ASMSTART
	
             v_fmac_f32 v98, v50, v34 
             
	;;#ASMEND
	;;#ASMSTART
	
             v_fmac_f32 v99, v50, v35 
             
	;;#ASMEND
	;;#ASMSTART
	
             v_fmac_f32 v96, v50, v36 
             
	;;#ASMEND
	;;#ASMSTART
	
             v_fmac_f32 v97, v50, v37 
             
	;;#ASMEND
	;;#ASMSTART
	
             v_fmac_f32 v114, v51, v34 
             
	;;#ASMEND
	;;#ASMSTART
	
             v_fmac_f32 v115, v51, v35 
             
	;;#ASMEND
	;;#ASMSTART
	
             v_fmac_f32 v112, v51, v36 
             
	;;#ASMEND
	;;#ASMSTART
	
             v_fmac_f32 v113, v51, v37 
             
	;;#ASMEND
	ds_read_b128 v[34:37], v94 offset:18432
	;;#ASMSTART
	
             v_fmac_f32 v56, v48, v26 
             
	;;#ASMEND
	;;#ASMSTART
	
             v_fmac_f32 v57, v48, v27 
             
	;;#ASMEND
	;; [unrolled: 5-line block ×16, first 2 shown]
	ds_read_b128 v[26:29], v94 offset:18688
	ds_read_b128 v[48:51], v93 offset:2304
	s_waitcnt lgkmcnt(2)
	;;#ASMSTART
	
             v_fmac_f32 v90, v30, v34 
             
	;;#ASMEND
	;;#ASMSTART
	
             v_fmac_f32 v91, v30, v35 
             
	;;#ASMEND
	;; [unrolled: 5-line block ×16, first 2 shown]
	s_waitcnt lgkmcnt(1)
	;;#ASMSTART
	
             v_fmac_f32 v88, v30, v26 
             
	;;#ASMEND
	;;#ASMSTART
	
             v_fmac_f32 v89, v30, v27 
             
	;;#ASMEND
	;; [unrolled: 5-line block ×16, first 2 shown]
	ds_read_b128 v[30:33], v93 offset:2560
	s_waitcnt lgkmcnt(1)
	;;#ASMSTART
	
             v_fmac_f32 v60, v48, v34 
             
	;;#ASMEND
	;;#ASMSTART
	
             v_fmac_f32 v61, v48, v35 
             
	;;#ASMEND
	;; [unrolled: 5-line block ×16, first 2 shown]
	ds_read_b128 v[34:37], v94 offset:18944
	;;#ASMSTART
	
             v_fmac_f32 v56, v48, v26 
             
	;;#ASMEND
	;;#ASMSTART
	
             v_fmac_f32 v57, v48, v27 
             
	;;#ASMEND
	;; [unrolled: 5-line block ×16, first 2 shown]
	ds_read_b128 v[26:29], v94 offset:19200
	ds_read_b128 v[48:51], v93 offset:2816
	s_waitcnt lgkmcnt(2)
	;;#ASMSTART
	
             v_fmac_f32 v90, v30, v34 
             
	;;#ASMEND
	;;#ASMSTART
	
             v_fmac_f32 v91, v30, v35 
             
	;;#ASMEND
	;; [unrolled: 5-line block ×16, first 2 shown]
	s_waitcnt lgkmcnt(1)
	;;#ASMSTART
	
             v_fmac_f32 v88, v30, v26 
             
	;;#ASMEND
	;;#ASMSTART
	
             v_fmac_f32 v89, v30, v27 
             
	;;#ASMEND
	;; [unrolled: 5-line block ×16, first 2 shown]
	ds_read_b128 v[30:33], v93 offset:3072
	s_waitcnt lgkmcnt(1)
	;;#ASMSTART
	
             v_fmac_f32 v60, v48, v34 
             
	;;#ASMEND
	;;#ASMSTART
	
             v_fmac_f32 v61, v48, v35 
             
	;;#ASMEND
	;; [unrolled: 5-line block ×16, first 2 shown]
	ds_read_b128 v[34:37], v94 offset:19456
	;;#ASMSTART
	
             v_fmac_f32 v56, v48, v26 
             
	;;#ASMEND
	;;#ASMSTART
	
             v_fmac_f32 v57, v48, v27 
             
	;;#ASMEND
	;; [unrolled: 5-line block ×16, first 2 shown]
	ds_read_b128 v[26:29], v94 offset:19712
	ds_read_b128 v[48:51], v93 offset:3328
	s_waitcnt lgkmcnt(2)
	;;#ASMSTART
	
             v_fmac_f32 v90, v30, v34 
             
	;;#ASMEND
	;;#ASMSTART
	
             v_fmac_f32 v91, v30, v35 
             
	;;#ASMEND
	;; [unrolled: 5-line block ×16, first 2 shown]
	s_waitcnt lgkmcnt(1)
	;;#ASMSTART
	
             v_fmac_f32 v88, v30, v26 
             
	;;#ASMEND
	;;#ASMSTART
	
             v_fmac_f32 v89, v30, v27 
             
	;;#ASMEND
	;; [unrolled: 5-line block ×16, first 2 shown]
	ds_read_b128 v[30:33], v93 offset:3584
	s_waitcnt lgkmcnt(1)
	;;#ASMSTART
	
             v_fmac_f32 v60, v48, v34 
             
	;;#ASMEND
	;;#ASMSTART
	
             v_fmac_f32 v61, v48, v35 
             
	;;#ASMEND
	;; [unrolled: 5-line block ×16, first 2 shown]
	ds_read_b128 v[34:37], v94 offset:19968
	;;#ASMSTART
	
             v_fmac_f32 v56, v48, v26 
             
	;;#ASMEND
	;;#ASMSTART
	
             v_fmac_f32 v57, v48, v27 
             
	;;#ASMEND
	;; [unrolled: 5-line block ×16, first 2 shown]
	ds_read_b128 v[26:29], v94 offset:20224
	ds_read_b128 v[48:51], v93 offset:3840
	s_waitcnt lgkmcnt(2)
	;;#ASMSTART
	
             v_fmac_f32 v90, v30, v34 
             
	;;#ASMEND
	;;#ASMSTART
	
             v_fmac_f32 v91, v30, v35 
             
	;;#ASMEND
	;; [unrolled: 5-line block ×16, first 2 shown]
	s_waitcnt lgkmcnt(1)
	;;#ASMSTART
	
             v_fmac_f32 v88, v30, v26 
             
	;;#ASMEND
	;;#ASMSTART
	
             v_fmac_f32 v89, v30, v27 
             
	;;#ASMEND
	;; [unrolled: 5-line block ×16, first 2 shown]
	ds_read_b128 v[30:33], v93 offset:4096
	s_waitcnt lgkmcnt(1)
	;;#ASMSTART
	
             v_fmac_f32 v60, v48, v34 
             
	;;#ASMEND
	;;#ASMSTART
	
             v_fmac_f32 v61, v48, v35 
             
	;;#ASMEND
	;; [unrolled: 5-line block ×16, first 2 shown]
	ds_read_b128 v[34:37], v94 offset:20480
	;;#ASMSTART
	
             v_fmac_f32 v56, v48, v26 
             
	;;#ASMEND
	;;#ASMSTART
	
             v_fmac_f32 v57, v48, v27 
             
	;;#ASMEND
	;; [unrolled: 5-line block ×16, first 2 shown]
	ds_read_b128 v[26:29], v94 offset:20736
	ds_read_b128 v[48:51], v93 offset:4352
	s_waitcnt lgkmcnt(2)
	;;#ASMSTART
	
             v_fmac_f32 v90, v30, v34 
             
	;;#ASMEND
	;;#ASMSTART
	
             v_fmac_f32 v91, v30, v35 
             
	;;#ASMEND
	;; [unrolled: 5-line block ×16, first 2 shown]
	s_waitcnt lgkmcnt(1)
	;;#ASMSTART
	
             v_fmac_f32 v88, v30, v26 
             
	;;#ASMEND
	;;#ASMSTART
	
             v_fmac_f32 v89, v30, v27 
             
	;;#ASMEND
	;; [unrolled: 5-line block ×16, first 2 shown]
	ds_read_b128 v[30:33], v93 offset:4608
	s_waitcnt lgkmcnt(1)
	;;#ASMSTART
	
             v_fmac_f32 v60, v48, v34 
             
	;;#ASMEND
	;;#ASMSTART
	
             v_fmac_f32 v61, v48, v35 
             
	;;#ASMEND
	;; [unrolled: 5-line block ×16, first 2 shown]
	ds_read_b128 v[34:37], v94 offset:20992
	;;#ASMSTART
	
             v_fmac_f32 v56, v48, v26 
             
	;;#ASMEND
	;;#ASMSTART
	
             v_fmac_f32 v57, v48, v27 
             
	;;#ASMEND
	;;#ASMSTART
	
             v_fmac_f32 v46, v48, v28 
             
	;;#ASMEND
	;;#ASMSTART
	
             v_fmac_f32 v47, v48, v29 
             
	;;#ASMEND
	;;#ASMSTART
	
             v_fmac_f32 v86, v49, v26 
             
	;;#ASMEND
	;;#ASMSTART
	
             v_fmac_f32 v87, v49, v27 
             
	;;#ASMEND
	;;#ASMSTART
	
             v_fmac_f32 v84, v49, v28 
             
	;;#ASMEND
	;;#ASMSTART
	
             v_fmac_f32 v85, v49, v29 
             
	;;#ASMEND
	;;#ASMSTART
	
             v_fmac_f32 v102, v50, v26 
             
	;;#ASMEND
	;;#ASMSTART
	
             v_fmac_f32 v103, v50, v27 
             
	;;#ASMEND
	;;#ASMSTART
	
             v_fmac_f32 v100, v50, v28 
             
	;;#ASMEND
	;;#ASMSTART
	
             v_fmac_f32 v101, v50, v29 
             
	;;#ASMEND
	;;#ASMSTART
	
             v_fmac_f32 v118, v51, v26 
             
	;;#ASMEND
	;;#ASMSTART
	
             v_fmac_f32 v119, v51, v27 
             
	;;#ASMEND
	;;#ASMSTART
	
             v_fmac_f32 v40, v51, v28 
             
	;;#ASMEND
	;;#ASMSTART
	
             v_fmac_f32 v41, v51, v29 
             
	;;#ASMEND
	ds_read_b128 v[26:29], v94 offset:21248
	ds_read_b128 v[48:51], v93 offset:4864
	s_waitcnt lgkmcnt(2)
	;;#ASMSTART
	
             v_fmac_f32 v90, v30, v34 
             
	;;#ASMEND
	;;#ASMSTART
	
             v_fmac_f32 v91, v30, v35 
             
	;;#ASMEND
	;; [unrolled: 5-line block ×16, first 2 shown]
	s_waitcnt lgkmcnt(1)
	;;#ASMSTART
	
             v_fmac_f32 v88, v30, v26 
             
	;;#ASMEND
	;;#ASMSTART
	
             v_fmac_f32 v89, v30, v27 
             
	;;#ASMEND
	;; [unrolled: 5-line block ×16, first 2 shown]
	ds_read_b128 v[30:33], v93 offset:5120
	s_waitcnt lgkmcnt(1)
	;;#ASMSTART
	
             v_fmac_f32 v60, v48, v34 
             
	;;#ASMEND
	;;#ASMSTART
	
             v_fmac_f32 v61, v48, v35 
             
	;;#ASMEND
	;; [unrolled: 5-line block ×16, first 2 shown]
	ds_read_b128 v[34:37], v94 offset:21504
	;;#ASMSTART
	
             v_fmac_f32 v56, v48, v26 
             
	;;#ASMEND
	;;#ASMSTART
	
             v_fmac_f32 v57, v48, v27 
             
	;;#ASMEND
	;;#ASMSTART
	
             v_fmac_f32 v46, v48, v28 
             
	;;#ASMEND
	;;#ASMSTART
	
             v_fmac_f32 v47, v48, v29 
             
	;;#ASMEND
	;;#ASMSTART
	
             v_fmac_f32 v86, v49, v26 
             
	;;#ASMEND
	;;#ASMSTART
	
             v_fmac_f32 v87, v49, v27 
             
	;;#ASMEND
	;;#ASMSTART
	
             v_fmac_f32 v84, v49, v28 
             
	;;#ASMEND
	;;#ASMSTART
	
             v_fmac_f32 v85, v49, v29 
             
	;;#ASMEND
	;;#ASMSTART
	
             v_fmac_f32 v102, v50, v26 
             
	;;#ASMEND
	;;#ASMSTART
	
             v_fmac_f32 v103, v50, v27 
             
	;;#ASMEND
	;;#ASMSTART
	
             v_fmac_f32 v100, v50, v28 
             
	;;#ASMEND
	;;#ASMSTART
	
             v_fmac_f32 v101, v50, v29 
             
	;;#ASMEND
	;;#ASMSTART
	
             v_fmac_f32 v118, v51, v26 
             
	;;#ASMEND
	;;#ASMSTART
	
             v_fmac_f32 v119, v51, v27 
             
	;;#ASMEND
	;;#ASMSTART
	
             v_fmac_f32 v40, v51, v28 
             
	;;#ASMEND
	;;#ASMSTART
	
             v_fmac_f32 v41, v51, v29 
             
	;;#ASMEND
	ds_read_b128 v[26:29], v94 offset:21760
	ds_read_b128 v[48:51], v93 offset:5376
	s_waitcnt lgkmcnt(2)
	;;#ASMSTART
	
             v_fmac_f32 v90, v30, v34 
             
	;;#ASMEND
	;;#ASMSTART
	
             v_fmac_f32 v91, v30, v35 
             
	;;#ASMEND
	;; [unrolled: 5-line block ×16, first 2 shown]
	s_waitcnt lgkmcnt(1)
	;;#ASMSTART
	
             v_fmac_f32 v88, v30, v26 
             
	;;#ASMEND
	;;#ASMSTART
	
             v_fmac_f32 v89, v30, v27 
             
	;;#ASMEND
	;; [unrolled: 5-line block ×16, first 2 shown]
	ds_read_b128 v[30:33], v93 offset:5632
	s_waitcnt lgkmcnt(1)
	;;#ASMSTART
	
             v_fmac_f32 v60, v48, v34 
             
	;;#ASMEND
	;;#ASMSTART
	
             v_fmac_f32 v61, v48, v35 
             
	;;#ASMEND
	;; [unrolled: 5-line block ×16, first 2 shown]
	ds_read_b128 v[34:37], v94 offset:22016
	;;#ASMSTART
	
             v_fmac_f32 v56, v48, v26 
             
	;;#ASMEND
	;;#ASMSTART
	
             v_fmac_f32 v57, v48, v27 
             
	;;#ASMEND
	;; [unrolled: 5-line block ×16, first 2 shown]
	ds_read_b128 v[26:29], v94 offset:22272
	ds_read_b128 v[48:51], v93 offset:5888
	s_waitcnt lgkmcnt(2)
	;;#ASMSTART
	
             v_fmac_f32 v90, v30, v34 
             
	;;#ASMEND
	;;#ASMSTART
	
             v_fmac_f32 v91, v30, v35 
             
	;;#ASMEND
	;; [unrolled: 5-line block ×16, first 2 shown]
	s_waitcnt lgkmcnt(1)
	;;#ASMSTART
	
             v_fmac_f32 v88, v30, v26 
             
	;;#ASMEND
	;;#ASMSTART
	
             v_fmac_f32 v89, v30, v27 
             
	;;#ASMEND
	;; [unrolled: 5-line block ×16, first 2 shown]
	ds_read_b128 v[30:33], v93 offset:6144
	s_waitcnt lgkmcnt(1)
	;;#ASMSTART
	
             v_fmac_f32 v60, v48, v34 
             
	;;#ASMEND
	;;#ASMSTART
	
             v_fmac_f32 v61, v48, v35 
             
	;;#ASMEND
	;; [unrolled: 5-line block ×16, first 2 shown]
	ds_read_b128 v[34:37], v94 offset:22528
	;;#ASMSTART
	
             v_fmac_f32 v56, v48, v26 
             
	;;#ASMEND
	;;#ASMSTART
	
             v_fmac_f32 v57, v48, v27 
             
	;;#ASMEND
	;; [unrolled: 5-line block ×16, first 2 shown]
	ds_read_b128 v[26:29], v94 offset:22784
	ds_read_b128 v[48:51], v93 offset:6400
	s_waitcnt lgkmcnt(2)
	;;#ASMSTART
	
             v_fmac_f32 v90, v30, v34 
             
	;;#ASMEND
	;;#ASMSTART
	
             v_fmac_f32 v91, v30, v35 
             
	;;#ASMEND
	;; [unrolled: 5-line block ×16, first 2 shown]
	s_waitcnt lgkmcnt(1)
	;;#ASMSTART
	
             v_fmac_f32 v88, v30, v26 
             
	;;#ASMEND
	;;#ASMSTART
	
             v_fmac_f32 v89, v30, v27 
             
	;;#ASMEND
	;; [unrolled: 5-line block ×16, first 2 shown]
	ds_read_b128 v[30:33], v93 offset:6656
	s_waitcnt lgkmcnt(1)
	;;#ASMSTART
	
             v_fmac_f32 v60, v48, v34 
             
	;;#ASMEND
	;;#ASMSTART
	
             v_fmac_f32 v61, v48, v35 
             
	;;#ASMEND
	;; [unrolled: 5-line block ×16, first 2 shown]
	ds_read_b128 v[34:37], v94 offset:23040
	;;#ASMSTART
	
             v_fmac_f32 v56, v48, v26 
             
	;;#ASMEND
	;;#ASMSTART
	
             v_fmac_f32 v57, v48, v27 
             
	;;#ASMEND
	;; [unrolled: 5-line block ×16, first 2 shown]
	ds_read_b128 v[26:29], v94 offset:23296
	ds_read_b128 v[48:51], v93 offset:6912
	s_waitcnt lgkmcnt(2)
	;;#ASMSTART
	
             v_fmac_f32 v90, v30, v34 
             
	;;#ASMEND
	;;#ASMSTART
	
             v_fmac_f32 v91, v30, v35 
             
	;;#ASMEND
	;; [unrolled: 5-line block ×16, first 2 shown]
	s_waitcnt lgkmcnt(1)
	;;#ASMSTART
	
             v_fmac_f32 v88, v30, v26 
             
	;;#ASMEND
	;;#ASMSTART
	
             v_fmac_f32 v89, v30, v27 
             
	;;#ASMEND
	;;#ASMSTART
	
             v_fmac_f32 v78, v30, v28 
             
	;;#ASMEND
	;;#ASMSTART
	
             v_fmac_f32 v79, v30, v29 
             
	;;#ASMEND
	;;#ASMSTART
	
             v_fmac_f32 v70, v31, v26 
             
	;;#ASMEND
	;;#ASMSTART
	
             v_fmac_f32 v71, v31, v27 
             
	;;#ASMEND
	;;#ASMSTART
	
             v_fmac_f32 v68, v31, v28 
             
	;;#ASMEND
	;;#ASMSTART
	
             v_fmac_f32 v69, v31, v29 
             
	;;#ASMEND
	;;#ASMSTART
	
             v_fmac_f32 v66, v32, v26 
             
	;;#ASMEND
	;;#ASMSTART
	
             v_fmac_f32 v67, v32, v27 
             
	;;#ASMEND
	;;#ASMSTART
	
             v_fmac_f32 v64, v32, v28 
             
	;;#ASMEND
	;;#ASMSTART
	
             v_fmac_f32 v65, v32, v29 
             
	;;#ASMEND
	;;#ASMSTART
	
             v_fmac_f32 v82, v33, v26 
             
	;;#ASMEND
	;;#ASMSTART
	
             v_fmac_f32 v83, v33, v27 
             
	;;#ASMEND
	;;#ASMSTART
	
             v_fmac_f32 v80, v33, v28 
             
	;;#ASMEND
	;;#ASMSTART
	
             v_fmac_f32 v81, v33, v29 
             
	;;#ASMEND
	ds_read_b128 v[30:33], v93 offset:7168
	s_waitcnt lgkmcnt(1)
	;;#ASMSTART
	
             v_fmac_f32 v60, v48, v34 
             
	;;#ASMEND
	;;#ASMSTART
	
             v_fmac_f32 v61, v48, v35 
             
	;;#ASMEND
	;; [unrolled: 5-line block ×16, first 2 shown]
	ds_read_b128 v[34:37], v94 offset:23552
	;;#ASMSTART
	
             v_fmac_f32 v56, v48, v26 
             
	;;#ASMEND
	;;#ASMSTART
	
             v_fmac_f32 v57, v48, v27 
             
	;;#ASMEND
	;; [unrolled: 5-line block ×16, first 2 shown]
	ds_read_b128 v[26:29], v94 offset:23808
	ds_read_b128 v[48:51], v93 offset:7424
	s_waitcnt lgkmcnt(2)
	;;#ASMSTART
	
             v_fmac_f32 v90, v30, v34 
             
	;;#ASMEND
	;;#ASMSTART
	
             v_fmac_f32 v91, v30, v35 
             
	;;#ASMEND
	;; [unrolled: 5-line block ×16, first 2 shown]
	s_waitcnt lgkmcnt(1)
	;;#ASMSTART
	
             v_fmac_f32 v88, v30, v26 
             
	;;#ASMEND
	;;#ASMSTART
	
             v_fmac_f32 v89, v30, v27 
             
	;;#ASMEND
	;; [unrolled: 5-line block ×16, first 2 shown]
	ds_read_b128 v[30:33], v93 offset:7680
	s_waitcnt lgkmcnt(1)
	;;#ASMSTART
	
             v_fmac_f32 v60, v48, v34 
             
	;;#ASMEND
	;;#ASMSTART
	
             v_fmac_f32 v61, v48, v35 
             
	;;#ASMEND
	;; [unrolled: 5-line block ×16, first 2 shown]
	ds_read_b128 v[34:37], v94 offset:24064
	;;#ASMSTART
	
             v_fmac_f32 v56, v48, v26 
             
	;;#ASMEND
	;;#ASMSTART
	
             v_fmac_f32 v57, v48, v27 
             
	;;#ASMEND
	;; [unrolled: 5-line block ×16, first 2 shown]
	ds_read_b128 v[26:29], v94 offset:24320
	ds_read_b128 v[48:51], v93 offset:7936
	s_waitcnt lgkmcnt(2)
	;;#ASMSTART
	
             v_fmac_f32 v90, v30, v34 
             
	;;#ASMEND
	;;#ASMSTART
	
             v_fmac_f32 v91, v30, v35 
             
	;;#ASMEND
	;; [unrolled: 5-line block ×16, first 2 shown]
	s_waitcnt lgkmcnt(1)
	;;#ASMSTART
	
             v_fmac_f32 v88, v30, v26 
             
	;;#ASMEND
	;;#ASMSTART
	
             v_fmac_f32 v89, v30, v27 
             
	;;#ASMEND
	;; [unrolled: 5-line block ×16, first 2 shown]
	s_waitcnt lgkmcnt(0)
	;;#ASMSTART
	
             v_fmac_f32 v60, v48, v34 
             
	;;#ASMEND
	;;#ASMSTART
	
             v_fmac_f32 v61, v48, v35 
             
	;;#ASMEND
	;; [unrolled: 5-line block ×32, first 2 shown]
	flat_load_dword v31, v[8:9] offset:156
	flat_load_dword v32, v[8:9] offset:108
	v_accvgpr_read_b32 v16, a8
	ds_write2st64_b32 v16, v127, v126 offset0:2 offset1:4
	flat_load_dword v33, v[8:9] offset:116
	flat_load_dword v34, v[8:9] offset:100
	ds_write2st64_b32 v16, v125, v108 offset0:6 offset1:8
	ds_write2st64_b32 v16, v116, v1 offset0:10 offset1:12
	ds_write_b32 v16, v0 offset:3584
	ds_write2st64_b32 v95, v124, v15 offset0:32 offset1:96
	v_accvgpr_read_b32 v15, a7
	v_cndmask_b32_e32 v18, 0, v18, vcc
	v_cndmask_b32_e32 v17, 0, v17, vcc
	flat_load_dword v35, v[8:9] offset:56
	flat_load_dwordx2 v[0:1], v[8:9] offset:16
	ds_write2st64_b32 v15, v106, v12 offset0:2 offset1:4
	ds_write2st64_b32 v15, v13, v14 offset0:6 offset1:8
	v_cndmask_b32_e32 v19, 0, v19, vcc
	flat_load_dword v14, v[10:11] offset:48
	ds_write2st64_b32 v15, v17, v18 offset0:10 offset1:12
	ds_write_b32 v15, v19 offset:3584
	flat_load_dword v36, v[8:9] offset:140
	flat_load_dword v16, v[8:9] offset:128
	flat_load_dwordx3 v[26:28], v[8:9] offset:28
	s_mov_b64 s[10:11], exec
	s_waitcnt vmcnt(0) lgkmcnt(0)
	v_mul_lo_u32 v13, v31, 12
	v_add_u32_e32 v15, v13, v121
	v_add_u32_e32 v12, v13, v120
	v_mul_hi_u32 v13, v15, v32
	v_add_u32_e32 v13, v15, v13
	v_lshrrev_b32_e32 v13, v33, v13
	v_mul_lo_u32 v17, v13, v34
	v_sub_u32_e32 v37, v15, v17
	v_sub_u32_e32 v18, v13, v110
	;; [unrolled: 1-line block ×3, first 2 shown]
	v_mul_lo_u32 v18, v18, v35
	v_add_u32_e32 v48, v18, v122
	v_mul_lo_u32 v18, v18, v0
	v_mul_lo_u32 v17, v17, v1
	v_add3_u32 v49, v18, v123, v17
	v_mul_lo_u32 v17, v14, 12
	v_sub_u32_e32 v26, v26, v28
	v_cmp_le_i32_e64 s[6:7], v27, v48
	v_cmp_gt_i32_e64 s[8:9], v26, v48
	v_add_u32_e32 v29, v17, v117
	v_add_u32_e32 v30, v17, v92
	v_cmp_lt_i32_e64 s[4:5], v12, v36
	v_accvgpr_read_b32 v17, a10
	s_and_b64 s[6:7], s[6:7], s[8:9]
	v_cmp_lt_i32_e32 vcc, v17, v16
	s_and_b64 s[4:5], s[4:5], s[6:7]
	s_and_b64 s[4:5], vcc, s[4:5]
	v_lshlrev_b32_e32 v28, 2, v49
.LBB1_18:                               ;   Parent Loop BB1_9 Depth=1
                                        ; =>  This Inner Loop Header: Depth=2
	v_readfirstlane_b32 s12, v22
	v_readfirstlane_b32 s13, v23
	;; [unrolled: 1-line block ×4, first 2 shown]
	v_cmp_eq_u64_e64 s[6:7], s[12:13], v[22:23]
	v_cmp_eq_u64_e64 s[8:9], s[14:15], v[24:25]
	s_and_b64 s[6:7], s[6:7], s[8:9]
	s_and_saveexec_b64 s[6:7], s[6:7]
	s_nop 0
	buffer_load_dwordx4 v[16:19], v28, s[12:15], 0 offen
                                        ; implicit-def: $vgpr28
	s_xor_b64 exec, exec, s[6:7]
	s_cbranch_execnz .LBB1_18
; %bb.19:                               ;   in Loop: Header=BB1_9 Depth=1
	s_mov_b64 exec, s[10:11]
	s_waitcnt vmcnt(0)
	v_cndmask_b32_e64 v121, 0, v16, s[4:5]
	v_lshlrev_b32_e32 v16, 2, v31
	v_add_u32_e32 v117, v16, v15
	v_add_u32_e32 v108, v16, v12
	v_mul_hi_u32 v12, v117, v32
	v_add_u32_e32 v12, v117, v12
	v_lshrrev_b32_e32 v15, v33, v12
	v_sub_u32_e32 v13, v15, v13
	v_mul_lo_u32 v12, v15, v34
	v_mul_lo_u32 v13, v13, v35
	v_sub_u32_e32 v12, v117, v12
	v_add_u32_e32 v116, v13, v48
	v_sub_u32_e32 v16, v12, v37
	v_cmp_le_i32_e64 s[6:7], v27, v116
	v_cmp_gt_i32_e64 s[8:9], v26, v116
	v_cndmask_b32_e64 v110, 0, v19, s[4:5]
	v_cndmask_b32_e64 v111, 0, v18, s[4:5]
	;; [unrolled: 1-line block ×3, first 2 shown]
	v_mul_lo_u32 v0, v13, v0
	v_mul_lo_u32 v1, v16, v1
	v_cmp_lt_i32_e64 s[4:5], v108, v36
	s_and_b64 s[6:7], s[6:7], s[8:9]
	v_add3_u32 v13, v0, v49, v1
	s_and_b64 s[4:5], s[4:5], s[6:7]
	v_lshlrev_b32_e32 v0, 2, v13
	s_and_b64 vcc, vcc, s[4:5]
	s_mov_b64 s[12:13], exec
.LBB1_20:                               ;   Parent Loop BB1_9 Depth=1
                                        ; =>  This Inner Loop Header: Depth=2
	v_readfirstlane_b32 s8, v22
	v_readfirstlane_b32 s9, v23
	;; [unrolled: 1-line block ×4, first 2 shown]
	v_cmp_eq_u64_e64 s[4:5], s[8:9], v[22:23]
	v_cmp_eq_u64_e64 s[6:7], s[10:11], v[24:25]
	s_and_b64 s[4:5], s[4:5], s[6:7]
	s_and_saveexec_b64 s[4:5], s[4:5]
	s_nop 0
	buffer_load_dwordx4 v[16:19], v0, s[8:11], 0 offen
                                        ; implicit-def: $vgpr0
	s_xor_b64 exec, exec, s[4:5]
	s_cbranch_execnz .LBB1_20
; %bb.21:                               ;   in Loop: Header=BB1_9 Depth=1
	s_mov_b64 exec, s[12:13]
	flat_load_dword v26, v[10:11] offset:32
	flat_load_dword v28, v[10:11] offset:20
	s_waitcnt vmcnt(0)
	v_cndmask_b32_e32 v123, 0, v16, vcc
	v_accvgpr_read_b32 v16, a9
	v_cndmask_b32_e32 v0, 0, v19, vcc
	v_cndmask_b32_e32 v1, 0, v18, vcc
	;; [unrolled: 1-line block ×3, first 2 shown]
	v_lshlrev_b32_e32 v27, 2, v30
	s_mov_b64 s[10:11], exec
	s_waitcnt lgkmcnt(0)
	v_cmp_gt_i32_e64 s[4:5], v26, v29
	v_cmp_gt_i32_e32 vcc, v28, v16
	s_and_b64 s[4:5], vcc, s[4:5]
.LBB1_22:                               ;   Parent Loop BB1_9 Depth=1
                                        ; =>  This Inner Loop Header: Depth=2
	v_readfirstlane_b32 s12, v2
	v_readfirstlane_b32 s13, v3
	;; [unrolled: 1-line block ×4, first 2 shown]
	v_cmp_eq_u64_e64 s[6:7], s[12:13], v[2:3]
	v_cmp_eq_u64_e64 s[8:9], s[14:15], v[4:5]
	s_and_b64 s[6:7], s[6:7], s[8:9]
	s_and_saveexec_b64 s[6:7], s[6:7]
	s_nop 0
	buffer_load_dwordx4 v[16:19], v27, s[12:15], 0 offen
                                        ; implicit-def: $vgpr27
	s_xor_b64 exec, exec, s[6:7]
	s_cbranch_execnz .LBB1_22
; %bb.23:                               ;   in Loop: Header=BB1_9 Depth=1
	s_mov_b64 exec, s[10:11]
	v_lshlrev_b32_e32 v14, 2, v14
	v_add_u32_e32 v92, v14, v29
	s_waitcnt vmcnt(0)
	v_cndmask_b32_e64 v124, 0, v19, s[4:5]
	v_cndmask_b32_e64 v125, 0, v18, s[4:5]
	;; [unrolled: 1-line block ×4, first 2 shown]
	v_add_u32_e32 v106, v14, v30
	v_cmp_gt_i32_e64 s[4:5], v26, v92
	v_lshlrev_b32_e32 v14, 2, v106
	s_and_b64 vcc, vcc, s[4:5]
	s_mov_b64 s[12:13], exec
.LBB1_24:                               ;   Parent Loop BB1_9 Depth=1
                                        ; =>  This Inner Loop Header: Depth=2
	v_readfirstlane_b32 s8, v2
	v_readfirstlane_b32 s9, v3
	;; [unrolled: 1-line block ×4, first 2 shown]
	v_cmp_eq_u64_e64 s[4:5], s[8:9], v[2:3]
	v_cmp_eq_u64_e64 s[6:7], s[10:11], v[4:5]
	s_and_b64 s[4:5], s[4:5], s[6:7]
	s_and_saveexec_b64 s[4:5], s[4:5]
	s_nop 0
	buffer_load_dwordx4 v[16:19], v14, s[8:11], 0 offen
                                        ; implicit-def: $vgpr14
	s_xor_b64 exec, exec, s[4:5]
	s_cbranch_execnz .LBB1_24
; %bb.25:                               ;   in Loop: Header=BB1_9 Depth=1
	s_mov_b64 exec, s[12:13]
	s_waitcnt vmcnt(0)
	v_cndmask_b32_e32 v14, 0, v19, vcc
	v_cndmask_b32_e32 v107, 0, v18, vcc
	s_waitcnt lgkmcnt(0)
	s_barrier
	ds_read_b128 v[26:29], v93 offset:8192
	ds_read_b128 v[30:33], v94 offset:24576
	v_cndmask_b32_e32 v104, 0, v17, vcc
	v_cndmask_b32_e32 v105, 0, v16, vcc
	ds_read_b128 v[16:19], v94 offset:24832
	ds_read_b128 v[34:37], v93 offset:8448
	s_waitcnt lgkmcnt(2)
	;;#ASMSTART
	
             v_fmac_f32 v90, v26, v30 
             
	;;#ASMEND
	;;#ASMSTART
	
             v_fmac_f32 v91, v26, v31 
             
	;;#ASMEND
	;; [unrolled: 5-line block ×16, first 2 shown]
	s_waitcnt lgkmcnt(1)
	;;#ASMSTART
	
             v_fmac_f32 v88, v26, v16 
             
	;;#ASMEND
	;;#ASMSTART
	
             v_fmac_f32 v89, v26, v17 
             
	;;#ASMEND
	;; [unrolled: 5-line block ×16, first 2 shown]
	ds_read_b128 v[26:29], v93 offset:8704
	s_waitcnt lgkmcnt(1)
	;;#ASMSTART
	
             v_fmac_f32 v60, v34, v30 
             
	;;#ASMEND
	;;#ASMSTART
	
             v_fmac_f32 v61, v34, v31 
             
	;;#ASMEND
	;; [unrolled: 5-line block ×16, first 2 shown]
	ds_read_b128 v[30:33], v94 offset:25088
	;;#ASMSTART
	
             v_fmac_f32 v56, v34, v16 
             
	;;#ASMEND
	;;#ASMSTART
	
             v_fmac_f32 v57, v34, v17 
             
	;;#ASMEND
	;;#ASMSTART
	
             v_fmac_f32 v46, v34, v18 
             
	;;#ASMEND
	;;#ASMSTART
	
             v_fmac_f32 v47, v34, v19 
             
	;;#ASMEND
	;;#ASMSTART
	
             v_fmac_f32 v86, v35, v16 
             
	;;#ASMEND
	;;#ASMSTART
	
             v_fmac_f32 v87, v35, v17 
             
	;;#ASMEND
	;;#ASMSTART
	
             v_fmac_f32 v84, v35, v18 
             
	;;#ASMEND
	;;#ASMSTART
	
             v_fmac_f32 v85, v35, v19 
             
	;;#ASMEND
	;;#ASMSTART
	
             v_fmac_f32 v102, v36, v16 
             
	;;#ASMEND
	;;#ASMSTART
	
             v_fmac_f32 v103, v36, v17 
             
	;;#ASMEND
	;;#ASMSTART
	
             v_fmac_f32 v100, v36, v18 
             
	;;#ASMEND
	;;#ASMSTART
	
             v_fmac_f32 v101, v36, v19 
             
	;;#ASMEND
	;;#ASMSTART
	
             v_fmac_f32 v118, v37, v16 
             
	;;#ASMEND
	;;#ASMSTART
	
             v_fmac_f32 v119, v37, v17 
             
	;;#ASMEND
	;;#ASMSTART
	
             v_fmac_f32 v40, v37, v18 
             
	;;#ASMEND
	;;#ASMSTART
	
             v_fmac_f32 v41, v37, v19 
             
	;;#ASMEND
	ds_read_b128 v[16:19], v94 offset:25344
	ds_read_b128 v[34:37], v93 offset:8960
	s_waitcnt lgkmcnt(2)
	;;#ASMSTART
	
             v_fmac_f32 v90, v26, v30 
             
	;;#ASMEND
	;;#ASMSTART
	
             v_fmac_f32 v91, v26, v31 
             
	;;#ASMEND
	;; [unrolled: 5-line block ×16, first 2 shown]
	s_waitcnt lgkmcnt(1)
	;;#ASMSTART
	
             v_fmac_f32 v88, v26, v16 
             
	;;#ASMEND
	;;#ASMSTART
	
             v_fmac_f32 v89, v26, v17 
             
	;;#ASMEND
	;; [unrolled: 5-line block ×16, first 2 shown]
	ds_read_b128 v[26:29], v93 offset:9216
	s_waitcnt lgkmcnt(1)
	;;#ASMSTART
	
             v_fmac_f32 v60, v34, v30 
             
	;;#ASMEND
	;;#ASMSTART
	
             v_fmac_f32 v61, v34, v31 
             
	;;#ASMEND
	;; [unrolled: 5-line block ×16, first 2 shown]
	ds_read_b128 v[30:33], v94 offset:25600
	;;#ASMSTART
	
             v_fmac_f32 v56, v34, v16 
             
	;;#ASMEND
	;;#ASMSTART
	
             v_fmac_f32 v57, v34, v17 
             
	;;#ASMEND
	;;#ASMSTART
	
             v_fmac_f32 v46, v34, v18 
             
	;;#ASMEND
	;;#ASMSTART
	
             v_fmac_f32 v47, v34, v19 
             
	;;#ASMEND
	;;#ASMSTART
	
             v_fmac_f32 v86, v35, v16 
             
	;;#ASMEND
	;;#ASMSTART
	
             v_fmac_f32 v87, v35, v17 
             
	;;#ASMEND
	;;#ASMSTART
	
             v_fmac_f32 v84, v35, v18 
             
	;;#ASMEND
	;;#ASMSTART
	
             v_fmac_f32 v85, v35, v19 
             
	;;#ASMEND
	;;#ASMSTART
	
             v_fmac_f32 v102, v36, v16 
             
	;;#ASMEND
	;;#ASMSTART
	
             v_fmac_f32 v103, v36, v17 
             
	;;#ASMEND
	;;#ASMSTART
	
             v_fmac_f32 v100, v36, v18 
             
	;;#ASMEND
	;;#ASMSTART
	
             v_fmac_f32 v101, v36, v19 
             
	;;#ASMEND
	;;#ASMSTART
	
             v_fmac_f32 v118, v37, v16 
             
	;;#ASMEND
	;;#ASMSTART
	
             v_fmac_f32 v119, v37, v17 
             
	;;#ASMEND
	;;#ASMSTART
	
             v_fmac_f32 v40, v37, v18 
             
	;;#ASMEND
	;;#ASMSTART
	
             v_fmac_f32 v41, v37, v19 
             
	;;#ASMEND
	ds_read_b128 v[16:19], v94 offset:25856
	ds_read_b128 v[34:37], v93 offset:9472
	s_waitcnt lgkmcnt(2)
	;;#ASMSTART
	
             v_fmac_f32 v90, v26, v30 
             
	;;#ASMEND
	;;#ASMSTART
	
             v_fmac_f32 v91, v26, v31 
             
	;;#ASMEND
	;; [unrolled: 5-line block ×16, first 2 shown]
	s_waitcnt lgkmcnt(1)
	;;#ASMSTART
	
             v_fmac_f32 v88, v26, v16 
             
	;;#ASMEND
	;;#ASMSTART
	
             v_fmac_f32 v89, v26, v17 
             
	;;#ASMEND
	;; [unrolled: 5-line block ×16, first 2 shown]
	ds_read_b128 v[26:29], v93 offset:9728
	s_waitcnt lgkmcnt(1)
	;;#ASMSTART
	
             v_fmac_f32 v60, v34, v30 
             
	;;#ASMEND
	;;#ASMSTART
	
             v_fmac_f32 v61, v34, v31 
             
	;;#ASMEND
	;; [unrolled: 5-line block ×16, first 2 shown]
	ds_read_b128 v[30:33], v94 offset:26112
	;;#ASMSTART
	
             v_fmac_f32 v56, v34, v16 
             
	;;#ASMEND
	;;#ASMSTART
	
             v_fmac_f32 v57, v34, v17 
             
	;;#ASMEND
	;; [unrolled: 5-line block ×16, first 2 shown]
	ds_read_b128 v[16:19], v94 offset:26368
	ds_read_b128 v[34:37], v93 offset:9984
	s_waitcnt lgkmcnt(2)
	;;#ASMSTART
	
             v_fmac_f32 v90, v26, v30 
             
	;;#ASMEND
	;;#ASMSTART
	
             v_fmac_f32 v91, v26, v31 
             
	;;#ASMEND
	;; [unrolled: 5-line block ×16, first 2 shown]
	s_waitcnt lgkmcnt(1)
	;;#ASMSTART
	
             v_fmac_f32 v88, v26, v16 
             
	;;#ASMEND
	;;#ASMSTART
	
             v_fmac_f32 v89, v26, v17 
             
	;;#ASMEND
	;; [unrolled: 5-line block ×16, first 2 shown]
	ds_read_b128 v[26:29], v93 offset:10240
	s_waitcnt lgkmcnt(1)
	;;#ASMSTART
	
             v_fmac_f32 v60, v34, v30 
             
	;;#ASMEND
	;;#ASMSTART
	
             v_fmac_f32 v61, v34, v31 
             
	;;#ASMEND
	;; [unrolled: 5-line block ×16, first 2 shown]
	ds_read_b128 v[30:33], v94 offset:26624
	;;#ASMSTART
	
             v_fmac_f32 v56, v34, v16 
             
	;;#ASMEND
	;;#ASMSTART
	
             v_fmac_f32 v57, v34, v17 
             
	;;#ASMEND
	;; [unrolled: 5-line block ×16, first 2 shown]
	ds_read_b128 v[16:19], v94 offset:26880
	ds_read_b128 v[34:37], v93 offset:10496
	s_waitcnt lgkmcnt(2)
	;;#ASMSTART
	
             v_fmac_f32 v90, v26, v30 
             
	;;#ASMEND
	;;#ASMSTART
	
             v_fmac_f32 v91, v26, v31 
             
	;;#ASMEND
	;; [unrolled: 5-line block ×16, first 2 shown]
	s_waitcnt lgkmcnt(1)
	;;#ASMSTART
	
             v_fmac_f32 v88, v26, v16 
             
	;;#ASMEND
	;;#ASMSTART
	
             v_fmac_f32 v89, v26, v17 
             
	;;#ASMEND
	;; [unrolled: 5-line block ×16, first 2 shown]
	ds_read_b128 v[26:29], v93 offset:10752
	s_waitcnt lgkmcnt(1)
	;;#ASMSTART
	
             v_fmac_f32 v60, v34, v30 
             
	;;#ASMEND
	;;#ASMSTART
	
             v_fmac_f32 v61, v34, v31 
             
	;;#ASMEND
	;; [unrolled: 5-line block ×16, first 2 shown]
	ds_read_b128 v[30:33], v94 offset:27136
	;;#ASMSTART
	
             v_fmac_f32 v56, v34, v16 
             
	;;#ASMEND
	;;#ASMSTART
	
             v_fmac_f32 v57, v34, v17 
             
	;;#ASMEND
	;; [unrolled: 5-line block ×16, first 2 shown]
	ds_read_b128 v[16:19], v94 offset:27392
	ds_read_b128 v[34:37], v93 offset:11008
	s_waitcnt lgkmcnt(2)
	;;#ASMSTART
	
             v_fmac_f32 v90, v26, v30 
             
	;;#ASMEND
	;;#ASMSTART
	
             v_fmac_f32 v91, v26, v31 
             
	;;#ASMEND
	;; [unrolled: 5-line block ×16, first 2 shown]
	s_waitcnt lgkmcnt(1)
	;;#ASMSTART
	
             v_fmac_f32 v88, v26, v16 
             
	;;#ASMEND
	;;#ASMSTART
	
             v_fmac_f32 v89, v26, v17 
             
	;;#ASMEND
	;; [unrolled: 5-line block ×16, first 2 shown]
	ds_read_b128 v[26:29], v93 offset:11264
	s_waitcnt lgkmcnt(1)
	;;#ASMSTART
	
             v_fmac_f32 v60, v34, v30 
             
	;;#ASMEND
	;;#ASMSTART
	
             v_fmac_f32 v61, v34, v31 
             
	;;#ASMEND
	;; [unrolled: 5-line block ×16, first 2 shown]
	ds_read_b128 v[30:33], v94 offset:27648
	;;#ASMSTART
	
             v_fmac_f32 v56, v34, v16 
             
	;;#ASMEND
	;;#ASMSTART
	
             v_fmac_f32 v57, v34, v17 
             
	;;#ASMEND
	;; [unrolled: 5-line block ×16, first 2 shown]
	ds_read_b128 v[16:19], v94 offset:27904
	ds_read_b128 v[34:37], v93 offset:11520
	s_waitcnt lgkmcnt(2)
	;;#ASMSTART
	
             v_fmac_f32 v90, v26, v30 
             
	;;#ASMEND
	;;#ASMSTART
	
             v_fmac_f32 v91, v26, v31 
             
	;;#ASMEND
	;; [unrolled: 5-line block ×16, first 2 shown]
	s_waitcnt lgkmcnt(1)
	;;#ASMSTART
	
             v_fmac_f32 v88, v26, v16 
             
	;;#ASMEND
	;;#ASMSTART
	
             v_fmac_f32 v89, v26, v17 
             
	;;#ASMEND
	;; [unrolled: 5-line block ×16, first 2 shown]
	ds_read_b128 v[26:29], v93 offset:11776
	s_waitcnt lgkmcnt(1)
	;;#ASMSTART
	
             v_fmac_f32 v60, v34, v30 
             
	;;#ASMEND
	;;#ASMSTART
	
             v_fmac_f32 v61, v34, v31 
             
	;;#ASMEND
	;; [unrolled: 5-line block ×16, first 2 shown]
	ds_read_b128 v[30:33], v94 offset:28160
	;;#ASMSTART
	
             v_fmac_f32 v56, v34, v16 
             
	;;#ASMEND
	;;#ASMSTART
	
             v_fmac_f32 v57, v34, v17 
             
	;;#ASMEND
	;;#ASMSTART
	
             v_fmac_f32 v46, v34, v18 
             
	;;#ASMEND
	;;#ASMSTART
	
             v_fmac_f32 v47, v34, v19 
             
	;;#ASMEND
	;;#ASMSTART
	
             v_fmac_f32 v86, v35, v16 
             
	;;#ASMEND
	;;#ASMSTART
	
             v_fmac_f32 v87, v35, v17 
             
	;;#ASMEND
	;;#ASMSTART
	
             v_fmac_f32 v84, v35, v18 
             
	;;#ASMEND
	;;#ASMSTART
	
             v_fmac_f32 v85, v35, v19 
             
	;;#ASMEND
	;;#ASMSTART
	
             v_fmac_f32 v102, v36, v16 
             
	;;#ASMEND
	;;#ASMSTART
	
             v_fmac_f32 v103, v36, v17 
             
	;;#ASMEND
	;;#ASMSTART
	
             v_fmac_f32 v100, v36, v18 
             
	;;#ASMEND
	;;#ASMSTART
	
             v_fmac_f32 v101, v36, v19 
             
	;;#ASMEND
	;;#ASMSTART
	
             v_fmac_f32 v118, v37, v16 
             
	;;#ASMEND
	;;#ASMSTART
	
             v_fmac_f32 v119, v37, v17 
             
	;;#ASMEND
	;;#ASMSTART
	
             v_fmac_f32 v40, v37, v18 
             
	;;#ASMEND
	;;#ASMSTART
	
             v_fmac_f32 v41, v37, v19 
             
	;;#ASMEND
	ds_read_b128 v[16:19], v94 offset:28416
	ds_read_b128 v[34:37], v93 offset:12032
	s_waitcnt lgkmcnt(2)
	;;#ASMSTART
	
             v_fmac_f32 v90, v26, v30 
             
	;;#ASMEND
	;;#ASMSTART
	
             v_fmac_f32 v91, v26, v31 
             
	;;#ASMEND
	;; [unrolled: 5-line block ×16, first 2 shown]
	s_waitcnt lgkmcnt(1)
	;;#ASMSTART
	
             v_fmac_f32 v88, v26, v16 
             
	;;#ASMEND
	;;#ASMSTART
	
             v_fmac_f32 v89, v26, v17 
             
	;;#ASMEND
	;; [unrolled: 5-line block ×16, first 2 shown]
	ds_read_b128 v[26:29], v93 offset:12288
	s_waitcnt lgkmcnt(1)
	;;#ASMSTART
	
             v_fmac_f32 v60, v34, v30 
             
	;;#ASMEND
	;;#ASMSTART
	
             v_fmac_f32 v61, v34, v31 
             
	;;#ASMEND
	;; [unrolled: 5-line block ×16, first 2 shown]
	ds_read_b128 v[30:33], v94 offset:28672
	;;#ASMSTART
	
             v_fmac_f32 v56, v34, v16 
             
	;;#ASMEND
	;;#ASMSTART
	
             v_fmac_f32 v57, v34, v17 
             
	;;#ASMEND
	;; [unrolled: 5-line block ×16, first 2 shown]
	ds_read_b128 v[16:19], v94 offset:28928
	ds_read_b128 v[34:37], v93 offset:12544
	s_waitcnt lgkmcnt(2)
	;;#ASMSTART
	
             v_fmac_f32 v90, v26, v30 
             
	;;#ASMEND
	;;#ASMSTART
	
             v_fmac_f32 v91, v26, v31 
             
	;;#ASMEND
	;; [unrolled: 5-line block ×16, first 2 shown]
	s_waitcnt lgkmcnt(1)
	;;#ASMSTART
	
             v_fmac_f32 v88, v26, v16 
             
	;;#ASMEND
	;;#ASMSTART
	
             v_fmac_f32 v89, v26, v17 
             
	;;#ASMEND
	;; [unrolled: 5-line block ×16, first 2 shown]
	ds_read_b128 v[26:29], v93 offset:12800
	s_waitcnt lgkmcnt(1)
	;;#ASMSTART
	
             v_fmac_f32 v60, v34, v30 
             
	;;#ASMEND
	;;#ASMSTART
	
             v_fmac_f32 v61, v34, v31 
             
	;;#ASMEND
	;;#ASMSTART
	
             v_fmac_f32 v58, v34, v32 
             
	;;#ASMEND
	;;#ASMSTART
	
             v_fmac_f32 v59, v34, v33 
             
	;;#ASMEND
	;;#ASMSTART
	
             v_fmac_f32 v44, v35, v30 
             
	;;#ASMEND
	;;#ASMSTART
	
             v_fmac_f32 v45, v35, v31 
             
	;;#ASMEND
	;;#ASMSTART
	
             v_fmac_f32 v42, v35, v32 
             
	;;#ASMEND
	;;#ASMSTART
	
             v_fmac_f32 v43, v35, v33 
             
	;;#ASMEND
	;;#ASMSTART
	
             v_fmac_f32 v98, v36, v30 
             
	;;#ASMEND
	;;#ASMSTART
	
             v_fmac_f32 v99, v36, v31 
             
	;;#ASMEND
	;;#ASMSTART
	
             v_fmac_f32 v96, v36, v32 
             
	;;#ASMEND
	;;#ASMSTART
	
             v_fmac_f32 v97, v36, v33 
             
	;;#ASMEND
	;;#ASMSTART
	
             v_fmac_f32 v114, v37, v30 
             
	;;#ASMEND
	;;#ASMSTART
	
             v_fmac_f32 v115, v37, v31 
             
	;;#ASMEND
	;;#ASMSTART
	
             v_fmac_f32 v112, v37, v32 
             
	;;#ASMEND
	;;#ASMSTART
	
             v_fmac_f32 v113, v37, v33 
             
	;;#ASMEND
	ds_read_b128 v[30:33], v94 offset:29184
	;;#ASMSTART
	
             v_fmac_f32 v56, v34, v16 
             
	;;#ASMEND
	;;#ASMSTART
	
             v_fmac_f32 v57, v34, v17 
             
	;;#ASMEND
	;; [unrolled: 5-line block ×16, first 2 shown]
	ds_read_b128 v[16:19], v94 offset:29440
	ds_read_b128 v[34:37], v93 offset:13056
	s_waitcnt lgkmcnt(2)
	;;#ASMSTART
	
             v_fmac_f32 v90, v26, v30 
             
	;;#ASMEND
	;;#ASMSTART
	
             v_fmac_f32 v91, v26, v31 
             
	;;#ASMEND
	;; [unrolled: 5-line block ×16, first 2 shown]
	s_waitcnt lgkmcnt(1)
	;;#ASMSTART
	
             v_fmac_f32 v88, v26, v16 
             
	;;#ASMEND
	;;#ASMSTART
	
             v_fmac_f32 v89, v26, v17 
             
	;;#ASMEND
	;; [unrolled: 5-line block ×16, first 2 shown]
	ds_read_b128 v[26:29], v93 offset:13312
	s_waitcnt lgkmcnt(1)
	;;#ASMSTART
	
             v_fmac_f32 v60, v34, v30 
             
	;;#ASMEND
	;;#ASMSTART
	
             v_fmac_f32 v61, v34, v31 
             
	;;#ASMEND
	;; [unrolled: 5-line block ×16, first 2 shown]
	ds_read_b128 v[30:33], v94 offset:29696
	;;#ASMSTART
	
             v_fmac_f32 v56, v34, v16 
             
	;;#ASMEND
	;;#ASMSTART
	
             v_fmac_f32 v57, v34, v17 
             
	;;#ASMEND
	;; [unrolled: 5-line block ×16, first 2 shown]
	ds_read_b128 v[16:19], v94 offset:29952
	ds_read_b128 v[34:37], v93 offset:13568
	s_waitcnt lgkmcnt(2)
	;;#ASMSTART
	
             v_fmac_f32 v90, v26, v30 
             
	;;#ASMEND
	;;#ASMSTART
	
             v_fmac_f32 v91, v26, v31 
             
	;;#ASMEND
	;; [unrolled: 5-line block ×16, first 2 shown]
	s_waitcnt lgkmcnt(1)
	;;#ASMSTART
	
             v_fmac_f32 v88, v26, v16 
             
	;;#ASMEND
	;;#ASMSTART
	
             v_fmac_f32 v89, v26, v17 
             
	;;#ASMEND
	;; [unrolled: 5-line block ×16, first 2 shown]
	ds_read_b128 v[26:29], v93 offset:13824
	s_waitcnt lgkmcnt(1)
	;;#ASMSTART
	
             v_fmac_f32 v60, v34, v30 
             
	;;#ASMEND
	;;#ASMSTART
	
             v_fmac_f32 v61, v34, v31 
             
	;;#ASMEND
	;; [unrolled: 5-line block ×16, first 2 shown]
	ds_read_b128 v[30:33], v94 offset:30208
	;;#ASMSTART
	
             v_fmac_f32 v56, v34, v16 
             
	;;#ASMEND
	;;#ASMSTART
	
             v_fmac_f32 v57, v34, v17 
             
	;;#ASMEND
	;; [unrolled: 5-line block ×16, first 2 shown]
	ds_read_b128 v[16:19], v94 offset:30464
	ds_read_b128 v[34:37], v93 offset:14080
	s_waitcnt lgkmcnt(2)
	;;#ASMSTART
	
             v_fmac_f32 v90, v26, v30 
             
	;;#ASMEND
	;;#ASMSTART
	
             v_fmac_f32 v91, v26, v31 
             
	;;#ASMEND
	;; [unrolled: 5-line block ×16, first 2 shown]
	s_waitcnt lgkmcnt(1)
	;;#ASMSTART
	
             v_fmac_f32 v88, v26, v16 
             
	;;#ASMEND
	;;#ASMSTART
	
             v_fmac_f32 v89, v26, v17 
             
	;;#ASMEND
	;; [unrolled: 5-line block ×16, first 2 shown]
	ds_read_b128 v[26:29], v93 offset:14336
	s_waitcnt lgkmcnt(1)
	;;#ASMSTART
	
             v_fmac_f32 v60, v34, v30 
             
	;;#ASMEND
	;;#ASMSTART
	
             v_fmac_f32 v61, v34, v31 
             
	;;#ASMEND
	;; [unrolled: 5-line block ×16, first 2 shown]
	ds_read_b128 v[30:33], v94 offset:30720
	;;#ASMSTART
	
             v_fmac_f32 v56, v34, v16 
             
	;;#ASMEND
	;;#ASMSTART
	
             v_fmac_f32 v57, v34, v17 
             
	;;#ASMEND
	;; [unrolled: 5-line block ×16, first 2 shown]
	ds_read_b128 v[16:19], v94 offset:30976
	ds_read_b128 v[34:37], v93 offset:14592
	s_waitcnt lgkmcnt(2)
	;;#ASMSTART
	
             v_fmac_f32 v90, v26, v30 
             
	;;#ASMEND
	;;#ASMSTART
	
             v_fmac_f32 v91, v26, v31 
             
	;;#ASMEND
	;;#ASMSTART
	
             v_fmac_f32 v38, v26, v32 
             
	;;#ASMEND
	;;#ASMSTART
	
             v_fmac_f32 v39, v26, v33 
             
	;;#ASMEND
	;;#ASMSTART
	
             v_fmac_f32 v76, v27, v30 
             
	;;#ASMEND
	;;#ASMSTART
	
             v_fmac_f32 v77, v27, v31 
             
	;;#ASMEND
	;;#ASMSTART
	
             v_fmac_f32 v74, v27, v32 
             
	;;#ASMEND
	;;#ASMSTART
	
             v_fmac_f32 v75, v27, v33 
             
	;;#ASMEND
	;;#ASMSTART
	
             v_fmac_f32 v54, v28, v30 
             
	;;#ASMEND
	;;#ASMSTART
	
             v_fmac_f32 v55, v28, v31 
             
	;;#ASMEND
	;;#ASMSTART
	
             v_fmac_f32 v52, v28, v32 
             
	;;#ASMEND
	;;#ASMSTART
	
             v_fmac_f32 v53, v28, v33 
             
	;;#ASMEND
	;;#ASMSTART
	
             v_fmac_f32 v72, v29, v30 
             
	;;#ASMEND
	;;#ASMSTART
	
             v_fmac_f32 v73, v29, v31 
             
	;;#ASMEND
	;;#ASMSTART
	
             v_fmac_f32 v62, v29, v32 
             
	;;#ASMEND
	;;#ASMSTART
	
             v_fmac_f32 v63, v29, v33 
             
	;;#ASMEND
	s_waitcnt lgkmcnt(1)
	;;#ASMSTART
	
             v_fmac_f32 v88, v26, v16 
             
	;;#ASMEND
	;;#ASMSTART
	
             v_fmac_f32 v89, v26, v17 
             
	;;#ASMEND
	;; [unrolled: 5-line block ×16, first 2 shown]
	ds_read_b128 v[26:29], v93 offset:14848
	s_waitcnt lgkmcnt(1)
	;;#ASMSTART
	
             v_fmac_f32 v60, v34, v30 
             
	;;#ASMEND
	;;#ASMSTART
	
             v_fmac_f32 v61, v34, v31 
             
	;;#ASMEND
	;; [unrolled: 5-line block ×16, first 2 shown]
	ds_read_b128 v[30:33], v94 offset:31232
	;;#ASMSTART
	
             v_fmac_f32 v56, v34, v16 
             
	;;#ASMEND
	;;#ASMSTART
	
             v_fmac_f32 v57, v34, v17 
             
	;;#ASMEND
	;; [unrolled: 5-line block ×16, first 2 shown]
	ds_read_b128 v[16:19], v94 offset:31488
	ds_read_b128 v[34:37], v93 offset:15104
	s_waitcnt lgkmcnt(2)
	;;#ASMSTART
	
             v_fmac_f32 v90, v26, v30 
             
	;;#ASMEND
	;;#ASMSTART
	
             v_fmac_f32 v91, v26, v31 
             
	;;#ASMEND
	;; [unrolled: 5-line block ×16, first 2 shown]
	s_waitcnt lgkmcnt(1)
	;;#ASMSTART
	
             v_fmac_f32 v88, v26, v16 
             
	;;#ASMEND
	;;#ASMSTART
	
             v_fmac_f32 v89, v26, v17 
             
	;;#ASMEND
	;; [unrolled: 5-line block ×16, first 2 shown]
	ds_read_b128 v[26:29], v93 offset:15360
	s_waitcnt lgkmcnt(1)
	;;#ASMSTART
	
             v_fmac_f32 v60, v34, v30 
             
	;;#ASMEND
	;;#ASMSTART
	
             v_fmac_f32 v61, v34, v31 
             
	;;#ASMEND
	;; [unrolled: 5-line block ×16, first 2 shown]
	ds_read_b128 v[30:33], v94 offset:31744
	;;#ASMSTART
	
             v_fmac_f32 v56, v34, v16 
             
	;;#ASMEND
	;;#ASMSTART
	
             v_fmac_f32 v57, v34, v17 
             
	;;#ASMEND
	;; [unrolled: 5-line block ×16, first 2 shown]
	ds_read_b128 v[16:19], v94 offset:32000
	ds_read_b128 v[48:51], v93 offset:15616
	s_waitcnt lgkmcnt(2)
	;;#ASMSTART
	
             v_fmac_f32 v90, v26, v30 
             
	;;#ASMEND
	;;#ASMSTART
	
             v_fmac_f32 v91, v26, v31 
             
	;;#ASMEND
	;; [unrolled: 5-line block ×16, first 2 shown]
	s_waitcnt lgkmcnt(1)
	;;#ASMSTART
	
             v_fmac_f32 v88, v26, v16 
             
	;;#ASMEND
	;;#ASMSTART
	
             v_fmac_f32 v89, v26, v17 
             
	;;#ASMEND
	;; [unrolled: 5-line block ×16, first 2 shown]
	ds_read_b128 v[34:37], v93 offset:15872
	s_waitcnt lgkmcnt(1)
	;;#ASMSTART
	
             v_fmac_f32 v60, v48, v30 
             
	;;#ASMEND
	;;#ASMSTART
	
             v_fmac_f32 v61, v48, v31 
             
	;;#ASMEND
	;; [unrolled: 5-line block ×16, first 2 shown]
	ds_read_b128 v[30:33], v94 offset:32256
	;;#ASMSTART
	
             v_fmac_f32 v56, v48, v16 
             
	;;#ASMEND
	;;#ASMSTART
	
             v_fmac_f32 v57, v48, v17 
             
	;;#ASMEND
	;; [unrolled: 5-line block ×16, first 2 shown]
	ds_read_b128 v[16:19], v94 offset:32512
	ds_read_b128 v[26:29], v93 offset:16128
	s_waitcnt lgkmcnt(2)
	;;#ASMSTART
	
             v_fmac_f32 v90, v34, v30 
             
	;;#ASMEND
	;;#ASMSTART
	
             v_fmac_f32 v91, v34, v31 
             
	;;#ASMEND
	;; [unrolled: 5-line block ×16, first 2 shown]
	s_waitcnt lgkmcnt(1)
	;;#ASMSTART
	
             v_fmac_f32 v88, v34, v16 
             
	;;#ASMEND
	;;#ASMSTART
	
             v_fmac_f32 v89, v34, v17 
             
	;;#ASMEND
	;; [unrolled: 5-line block ×16, first 2 shown]
	s_waitcnt lgkmcnt(0)
	;;#ASMSTART
	
             v_fmac_f32 v60, v26, v30 
             
	;;#ASMEND
	;;#ASMSTART
	
             v_fmac_f32 v61, v26, v31 
             
	;;#ASMEND
	;; [unrolled: 5-line block ×32, first 2 shown]
	ds_write2st64_b32 v95, v121, v120 offset1:2
	ds_write2st64_b32 v95, v111, v110 offset0:4 offset1:6
	ds_write2st64_b32 v95, v123, v122 offset0:8 offset1:10
	;; [unrolled: 1-line block ×3, first 2 shown]
	ds_write_b32 v95, v127 offset:16384
	ds_write2st64_b32 v109, v126, v125 offset0:2 offset1:4
	ds_write2st64_b32 v109, v124, v105 offset0:6 offset1:8
	;; [unrolled: 1-line block ×3, first 2 shown]
	s_add_i32 s20, s20, 32
	v_accvgpr_read_b32 v0, a11
	v_cmp_ge_i32_e32 vcc, s20, v0
	s_or_b64 s[16:17], vcc, s[16:17]
	ds_write_b32 v109, v14 offset:3584
	s_andn2_b64 exec, exec, s[16:17]
	s_cbranch_execnz .LBB1_9
; %bb.26:
	s_or_b64 exec, exec, s[16:17]
	flat_load_dword v0, v[8:9] offset:156
	flat_load_dword v18, v[8:9] offset:116
	flat_load_dword v19, v[8:9] offset:108
	flat_load_dword v29, v[8:9] offset:100
	flat_load_dword v30, v[8:9] offset:56
	flat_load_dwordx2 v[16:17], v[8:9] offset:16
	flat_load_dword v1, v[10:11] offset:48
	s_waitcnt lgkmcnt(0)
	s_barrier
	flat_load_dword v14, v[8:9] offset:128
	flat_load_dwordx3 v[26:28], v[8:9] offset:28
	flat_load_dword v32, v[8:9] offset:140
	s_mov_b64 s[10:11], exec
	s_waitcnt vmcnt(0)
	v_mul_lo_u32 v0, v0, 12
	v_add_u32_e32 v36, v0, v117
	v_add_u32_e32 v35, v0, v108
	v_mul_hi_u32 v0, v36, v19
	v_add_u32_e32 v0, v36, v0
	v_lshrrev_b32_e32 v33, v18, v0
	v_mul_lo_u32 v0, v33, v29
	v_sub_u32_e32 v15, v33, v15
	v_mul_lo_u32 v31, v1, 12
	v_accvgpr_read_b32 v1, a10
	v_sub_u32_e32 v0, v36, v0
	v_mul_lo_u32 v15, v15, v30
	s_waitcnt lgkmcnt(0)
	v_cmp_lt_i32_e32 vcc, v1, v14
	v_sub_u32_e32 v14, v26, v28
	v_sub_u32_e32 v18, v0, v12
	v_add_u32_e32 v12, v15, v116
	v_cmp_le_i32_e64 s[6:7], v27, v12
	v_cmp_gt_i32_e64 s[8:9], v14, v12
	v_cmp_lt_i32_e64 s[4:5], v35, v32
	v_mul_lo_u32 v15, v15, v16
	v_mul_lo_u32 v16, v18, v17
	s_and_b64 s[6:7], s[6:7], s[8:9]
	v_add3_u32 v26, v15, v13, v16
	s_and_b64 s[4:5], s[4:5], s[6:7]
	v_add_u32_e32 v1, v31, v92
	v_add_u32_e32 v34, v31, v106
	v_lshlrev_b32_e32 v13, 2, v26
	s_and_b64 s[4:5], vcc, s[4:5]
.LBB1_27:                               ; =>This Inner Loop Header: Depth=1
	v_readfirstlane_b32 s12, v22
	v_readfirstlane_b32 s13, v23
	;; [unrolled: 1-line block ×4, first 2 shown]
	v_cmp_eq_u64_e64 s[6:7], s[12:13], v[22:23]
	v_cmp_eq_u64_e64 s[8:9], s[14:15], v[24:25]
	s_and_b64 s[6:7], s[6:7], s[8:9]
	s_and_saveexec_b64 s[6:7], s[6:7]
	s_nop 0
	buffer_load_dwordx4 v[16:19], v13, s[12:15], 0 offen
                                        ; implicit-def: $vgpr13
	s_xor_b64 exec, exec, s[6:7]
	s_cbranch_execnz .LBB1_27
; %bb.28:
	s_mov_b64 exec, s[10:11]
	flat_load_dword v13, v[8:9] offset:156
	flat_load_dword v15, v[8:9] offset:108
	;; [unrolled: 1-line block ×5, first 2 shown]
	s_nop 0
	flat_load_dwordx2 v[8:9], v[8:9] offset:16
	s_waitcnt vmcnt(0)
	v_cndmask_b32_e64 v29, 0, v16, s[4:5]
	v_cndmask_b32_e64 v28, 0, v19, s[4:5]
	;; [unrolled: 1-line block ×4, first 2 shown]
	s_mov_b64 s[12:13], exec
	s_waitcnt lgkmcnt(0)
	v_lshlrev_b32_e32 v13, 2, v13
	v_add_u32_e32 v16, v13, v35
	v_add_u32_e32 v13, v13, v36
	v_mul_hi_u32 v15, v13, v15
	v_add_u32_e32 v15, v13, v15
	v_lshrrev_b32_e32 v15, v37, v15
	v_cmp_lt_i32_e64 s[4:5], v16, v32
	v_mad_u64_u32 v[16:17], s[6:7], v15, v48, v[0:1]
	v_sub_u32_e32 v0, v15, v33
	v_sub_u32_e32 v13, v13, v16
	v_mul_lo_u32 v0, v0, v49
	v_add_u32_e32 v12, v0, v12
	v_mul_lo_u32 v13, v13, v9
	v_mad_u64_u32 v[8:9], s[6:7], v0, v8, v[26:27]
	v_cmp_le_i32_e64 s[6:7], v27, v12
	v_cmp_gt_i32_e64 s[8:9], v14, v12
	s_and_b64 s[6:7], s[6:7], s[8:9]
	s_and_b64 s[4:5], s[4:5], s[6:7]
	v_add_lshl_u32 v0, v8, v13, 2
	s_and_b64 vcc, vcc, s[4:5]
.LBB1_29:                               ; =>This Inner Loop Header: Depth=1
	v_readfirstlane_b32 s8, v22
	v_readfirstlane_b32 s9, v23
	;; [unrolled: 1-line block ×4, first 2 shown]
	v_cmp_eq_u64_e64 s[4:5], s[8:9], v[22:23]
	v_cmp_eq_u64_e64 s[6:7], s[10:11], v[24:25]
	s_and_b64 s[4:5], s[4:5], s[6:7]
	s_and_saveexec_b64 s[4:5], s[4:5]
	s_nop 0
	buffer_load_dwordx4 v[16:19], v0, s[8:11], 0 offen
                                        ; implicit-def: $vgpr22_vgpr23_vgpr24_vgpr25
                                        ; implicit-def: $vgpr0
	s_xor_b64 exec, exec, s[4:5]
	s_cbranch_execnz .LBB1_29
; %bb.30:
	s_mov_b64 exec, s[12:13]
	flat_load_dword v0, v[10:11] offset:32
	flat_load_dword v9, v[10:11] offset:20
	v_accvgpr_read_b32 v14, a9
	s_waitcnt vmcnt(0)
	v_cndmask_b32_e32 v12, 0, v19, vcc
	v_cndmask_b32_e32 v13, 0, v18, vcc
	v_cndmask_b32_e32 v26, 0, v17, vcc
	v_cndmask_b32_e32 v27, 0, v16, vcc
	v_lshlrev_b32_e32 v8, 2, v34
	s_mov_b64 s[10:11], exec
	s_waitcnt lgkmcnt(0)
	v_cmp_gt_i32_e64 s[4:5], v0, v1
	v_cmp_gt_i32_e32 vcc, v9, v14
	s_and_b64 s[4:5], vcc, s[4:5]
.LBB1_31:                               ; =>This Inner Loop Header: Depth=1
	v_readfirstlane_b32 s12, v2
	v_readfirstlane_b32 s13, v3
	;; [unrolled: 1-line block ×4, first 2 shown]
	v_cmp_eq_u64_e64 s[6:7], s[12:13], v[2:3]
	v_cmp_eq_u64_e64 s[8:9], s[14:15], v[4:5]
	s_and_b64 s[6:7], s[6:7], s[8:9]
	s_and_saveexec_b64 s[6:7], s[6:7]
	s_nop 0
	buffer_load_dwordx4 v[16:19], v8, s[12:15], 0 offen
                                        ; implicit-def: $vgpr8
	s_xor_b64 exec, exec, s[6:7]
	s_cbranch_execnz .LBB1_31
; %bb.32:
	s_mov_b64 exec, s[10:11]
	flat_load_dword v8, v[10:11] offset:48
	s_waitcnt vmcnt(0)
	v_cndmask_b32_e64 v14, 0, v19, s[4:5]
	v_cndmask_b32_e64 v15, 0, v18, s[4:5]
	;; [unrolled: 1-line block ×4, first 2 shown]
	s_mov_b64 s[12:13], exec
	s_waitcnt lgkmcnt(0)
	v_lshlrev_b32_e32 v8, 2, v8
	v_add_u32_e32 v9, v8, v1
	v_cmp_gt_i32_e64 s[4:5], v0, v9
	v_add_lshl_u32 v1, v8, v34, 2
	s_and_b64 vcc, vcc, s[4:5]
.LBB1_33:                               ; =>This Inner Loop Header: Depth=1
	v_readfirstlane_b32 s8, v2
	v_readfirstlane_b32 s9, v3
	;; [unrolled: 1-line block ×4, first 2 shown]
	v_cmp_eq_u64_e64 s[4:5], s[8:9], v[2:3]
	v_cmp_eq_u64_e64 s[6:7], s[10:11], v[4:5]
	s_and_b64 s[4:5], s[4:5], s[6:7]
	s_and_saveexec_b64 s[4:5], s[4:5]
	s_nop 0
	buffer_load_dwordx4 v[22:25], v1, s[8:11], 0 offen
                                        ; implicit-def: $vgpr2_vgpr3_vgpr4_vgpr5
                                        ; implicit-def: $vgpr1
	s_xor_b64 exec, exec, s[4:5]
	s_cbranch_execnz .LBB1_33
; %bb.34:
	s_mov_b64 exec, s[12:13]
	s_waitcnt vmcnt(0)
	v_cndmask_b32_e32 v4, 0, v25, vcc
	v_cndmask_b32_e32 v5, 0, v24, vcc
	ds_read_b128 v[8:11], v93
	ds_read_b128 v[16:19], v94 offset:16384
	v_cndmask_b32_e32 v34, 0, v23, vcc
	v_cndmask_b32_e32 v35, 0, v22, vcc
	ds_read_b128 v[0:3], v94 offset:16640
	ds_read_b128 v[22:25], v93 offset:256
	s_waitcnt lgkmcnt(2)
	;;#ASMSTART
	
             v_fmac_f32 v90, v8, v16 
             
	;;#ASMEND
	;;#ASMSTART
	
             v_fmac_f32 v91, v8, v17 
             
	;;#ASMEND
	;; [unrolled: 5-line block ×16, first 2 shown]
	s_waitcnt lgkmcnt(1)
	;;#ASMSTART
	
             v_fmac_f32 v88, v8, v0 
             
	;;#ASMEND
	;;#ASMSTART
	
             v_fmac_f32 v89, v8, v1 
             
	;;#ASMEND
	;; [unrolled: 5-line block ×16, first 2 shown]
	ds_read_b128 v[8:11], v93 offset:512
	s_waitcnt lgkmcnt(1)
	;;#ASMSTART
	
             v_fmac_f32 v60, v22, v16 
             
	;;#ASMEND
	;;#ASMSTART
	
             v_fmac_f32 v61, v22, v17 
             
	;;#ASMEND
	;; [unrolled: 5-line block ×16, first 2 shown]
	ds_read_b128 v[16:19], v94 offset:16896
	;;#ASMSTART
	
             v_fmac_f32 v56, v22, v0 
             
	;;#ASMEND
	;;#ASMSTART
	
             v_fmac_f32 v57, v22, v1 
             
	;;#ASMEND
	;; [unrolled: 5-line block ×16, first 2 shown]
	ds_read_b128 v[0:3], v94 offset:17152
	ds_read_b128 v[22:25], v93 offset:768
	s_waitcnt lgkmcnt(2)
	;;#ASMSTART
	
             v_fmac_f32 v90, v8, v16 
             
	;;#ASMEND
	;;#ASMSTART
	
             v_fmac_f32 v91, v8, v17 
             
	;;#ASMEND
	;; [unrolled: 5-line block ×16, first 2 shown]
	s_waitcnt lgkmcnt(1)
	;;#ASMSTART
	
             v_fmac_f32 v88, v8, v0 
             
	;;#ASMEND
	;;#ASMSTART
	
             v_fmac_f32 v89, v8, v1 
             
	;;#ASMEND
	;; [unrolled: 5-line block ×16, first 2 shown]
	ds_read_b128 v[8:11], v93 offset:1024
	s_waitcnt lgkmcnt(1)
	;;#ASMSTART
	
             v_fmac_f32 v60, v22, v16 
             
	;;#ASMEND
	;;#ASMSTART
	
             v_fmac_f32 v61, v22, v17 
             
	;;#ASMEND
	;; [unrolled: 5-line block ×16, first 2 shown]
	ds_read_b128 v[16:19], v94 offset:17408
	;;#ASMSTART
	
             v_fmac_f32 v56, v22, v0 
             
	;;#ASMEND
	;;#ASMSTART
	
             v_fmac_f32 v57, v22, v1 
             
	;;#ASMEND
	;; [unrolled: 5-line block ×16, first 2 shown]
	ds_read_b128 v[0:3], v94 offset:17664
	ds_read_b128 v[22:25], v93 offset:1280
	s_waitcnt lgkmcnt(2)
	;;#ASMSTART
	
             v_fmac_f32 v90, v8, v16 
             
	;;#ASMEND
	;;#ASMSTART
	
             v_fmac_f32 v91, v8, v17 
             
	;;#ASMEND
	;; [unrolled: 5-line block ×16, first 2 shown]
	s_waitcnt lgkmcnt(1)
	;;#ASMSTART
	
             v_fmac_f32 v88, v8, v0 
             
	;;#ASMEND
	;;#ASMSTART
	
             v_fmac_f32 v89, v8, v1 
             
	;;#ASMEND
	;; [unrolled: 5-line block ×16, first 2 shown]
	ds_read_b128 v[8:11], v93 offset:1536
	s_waitcnt lgkmcnt(1)
	;;#ASMSTART
	
             v_fmac_f32 v60, v22, v16 
             
	;;#ASMEND
	;;#ASMSTART
	
             v_fmac_f32 v61, v22, v17 
             
	;;#ASMEND
	;; [unrolled: 5-line block ×16, first 2 shown]
	ds_read_b128 v[16:19], v94 offset:17920
	;;#ASMSTART
	
             v_fmac_f32 v56, v22, v0 
             
	;;#ASMEND
	;;#ASMSTART
	
             v_fmac_f32 v57, v22, v1 
             
	;;#ASMEND
	;; [unrolled: 5-line block ×16, first 2 shown]
	ds_read_b128 v[0:3], v94 offset:18176
	ds_read_b128 v[22:25], v93 offset:1792
	s_waitcnt lgkmcnt(2)
	;;#ASMSTART
	
             v_fmac_f32 v90, v8, v16 
             
	;;#ASMEND
	;;#ASMSTART
	
             v_fmac_f32 v91, v8, v17 
             
	;;#ASMEND
	;; [unrolled: 5-line block ×16, first 2 shown]
	s_waitcnt lgkmcnt(1)
	;;#ASMSTART
	
             v_fmac_f32 v88, v8, v0 
             
	;;#ASMEND
	;;#ASMSTART
	
             v_fmac_f32 v89, v8, v1 
             
	;;#ASMEND
	;;#ASMSTART
	
             v_fmac_f32 v78, v8, v2 
             
	;;#ASMEND
	;;#ASMSTART
	
             v_fmac_f32 v79, v8, v3 
             
	;;#ASMEND
	;;#ASMSTART
	
             v_fmac_f32 v70, v9, v0 
             
	;;#ASMEND
	;;#ASMSTART
	
             v_fmac_f32 v71, v9, v1 
             
	;;#ASMEND
	;;#ASMSTART
	
             v_fmac_f32 v68, v9, v2 
             
	;;#ASMEND
	;;#ASMSTART
	
             v_fmac_f32 v69, v9, v3 
             
	;;#ASMEND
	;;#ASMSTART
	
             v_fmac_f32 v66, v10, v0 
             
	;;#ASMEND
	;;#ASMSTART
	
             v_fmac_f32 v67, v10, v1 
             
	;;#ASMEND
	;;#ASMSTART
	
             v_fmac_f32 v64, v10, v2 
             
	;;#ASMEND
	;;#ASMSTART
	
             v_fmac_f32 v65, v10, v3 
             
	;;#ASMEND
	;;#ASMSTART
	
             v_fmac_f32 v82, v11, v0 
             
	;;#ASMEND
	;;#ASMSTART
	
             v_fmac_f32 v83, v11, v1 
             
	;;#ASMEND
	;;#ASMSTART
	
             v_fmac_f32 v80, v11, v2 
             
	;;#ASMEND
	;;#ASMSTART
	
             v_fmac_f32 v81, v11, v3 
             
	;;#ASMEND
	ds_read_b128 v[8:11], v93 offset:2048
	s_waitcnt lgkmcnt(1)
	;;#ASMSTART
	
             v_fmac_f32 v60, v22, v16 
             
	;;#ASMEND
	;;#ASMSTART
	
             v_fmac_f32 v61, v22, v17 
             
	;;#ASMEND
	;; [unrolled: 5-line block ×16, first 2 shown]
	ds_read_b128 v[16:19], v94 offset:18432
	;;#ASMSTART
	
             v_fmac_f32 v56, v22, v0 
             
	;;#ASMEND
	;;#ASMSTART
	
             v_fmac_f32 v57, v22, v1 
             
	;;#ASMEND
	;; [unrolled: 5-line block ×16, first 2 shown]
	ds_read_b128 v[0:3], v94 offset:18688
	ds_read_b128 v[22:25], v93 offset:2304
	s_waitcnt lgkmcnt(2)
	;;#ASMSTART
	
             v_fmac_f32 v90, v8, v16 
             
	;;#ASMEND
	;;#ASMSTART
	
             v_fmac_f32 v91, v8, v17 
             
	;;#ASMEND
	;; [unrolled: 5-line block ×16, first 2 shown]
	s_waitcnt lgkmcnt(1)
	;;#ASMSTART
	
             v_fmac_f32 v88, v8, v0 
             
	;;#ASMEND
	;;#ASMSTART
	
             v_fmac_f32 v89, v8, v1 
             
	;;#ASMEND
	;; [unrolled: 5-line block ×16, first 2 shown]
	ds_read_b128 v[8:11], v93 offset:2560
	s_waitcnt lgkmcnt(1)
	;;#ASMSTART
	
             v_fmac_f32 v60, v22, v16 
             
	;;#ASMEND
	;;#ASMSTART
	
             v_fmac_f32 v61, v22, v17 
             
	;;#ASMEND
	;; [unrolled: 5-line block ×16, first 2 shown]
	ds_read_b128 v[16:19], v94 offset:18944
	;;#ASMSTART
	
             v_fmac_f32 v56, v22, v0 
             
	;;#ASMEND
	;;#ASMSTART
	
             v_fmac_f32 v57, v22, v1 
             
	;;#ASMEND
	;; [unrolled: 5-line block ×16, first 2 shown]
	ds_read_b128 v[0:3], v94 offset:19200
	ds_read_b128 v[22:25], v93 offset:2816
	s_waitcnt lgkmcnt(2)
	;;#ASMSTART
	
             v_fmac_f32 v90, v8, v16 
             
	;;#ASMEND
	;;#ASMSTART
	
             v_fmac_f32 v91, v8, v17 
             
	;;#ASMEND
	;; [unrolled: 5-line block ×16, first 2 shown]
	s_waitcnt lgkmcnt(1)
	;;#ASMSTART
	
             v_fmac_f32 v88, v8, v0 
             
	;;#ASMEND
	;;#ASMSTART
	
             v_fmac_f32 v89, v8, v1 
             
	;;#ASMEND
	;; [unrolled: 5-line block ×16, first 2 shown]
	ds_read_b128 v[8:11], v93 offset:3072
	s_waitcnt lgkmcnt(1)
	;;#ASMSTART
	
             v_fmac_f32 v60, v22, v16 
             
	;;#ASMEND
	;;#ASMSTART
	
             v_fmac_f32 v61, v22, v17 
             
	;;#ASMEND
	;; [unrolled: 5-line block ×16, first 2 shown]
	ds_read_b128 v[16:19], v94 offset:19456
	;;#ASMSTART
	
             v_fmac_f32 v56, v22, v0 
             
	;;#ASMEND
	;;#ASMSTART
	
             v_fmac_f32 v57, v22, v1 
             
	;;#ASMEND
	;; [unrolled: 5-line block ×16, first 2 shown]
	ds_read_b128 v[0:3], v94 offset:19712
	ds_read_b128 v[22:25], v93 offset:3328
	s_waitcnt lgkmcnt(2)
	;;#ASMSTART
	
             v_fmac_f32 v90, v8, v16 
             
	;;#ASMEND
	;;#ASMSTART
	
             v_fmac_f32 v91, v8, v17 
             
	;;#ASMEND
	;; [unrolled: 5-line block ×16, first 2 shown]
	s_waitcnt lgkmcnt(1)
	;;#ASMSTART
	
             v_fmac_f32 v88, v8, v0 
             
	;;#ASMEND
	;;#ASMSTART
	
             v_fmac_f32 v89, v8, v1 
             
	;;#ASMEND
	;; [unrolled: 5-line block ×16, first 2 shown]
	ds_read_b128 v[8:11], v93 offset:3584
	s_waitcnt lgkmcnt(1)
	;;#ASMSTART
	
             v_fmac_f32 v60, v22, v16 
             
	;;#ASMEND
	;;#ASMSTART
	
             v_fmac_f32 v61, v22, v17 
             
	;;#ASMEND
	;; [unrolled: 5-line block ×16, first 2 shown]
	ds_read_b128 v[16:19], v94 offset:19968
	;;#ASMSTART
	
             v_fmac_f32 v56, v22, v0 
             
	;;#ASMEND
	;;#ASMSTART
	
             v_fmac_f32 v57, v22, v1 
             
	;;#ASMEND
	;; [unrolled: 5-line block ×16, first 2 shown]
	ds_read_b128 v[0:3], v94 offset:20224
	ds_read_b128 v[22:25], v93 offset:3840
	s_waitcnt lgkmcnt(2)
	;;#ASMSTART
	
             v_fmac_f32 v90, v8, v16 
             
	;;#ASMEND
	;;#ASMSTART
	
             v_fmac_f32 v91, v8, v17 
             
	;;#ASMEND
	;;#ASMSTART
	
             v_fmac_f32 v38, v8, v18 
             
	;;#ASMEND
	;;#ASMSTART
	
             v_fmac_f32 v39, v8, v19 
             
	;;#ASMEND
	;;#ASMSTART
	
             v_fmac_f32 v76, v9, v16 
             
	;;#ASMEND
	;;#ASMSTART
	
             v_fmac_f32 v77, v9, v17 
             
	;;#ASMEND
	;;#ASMSTART
	
             v_fmac_f32 v74, v9, v18 
             
	;;#ASMEND
	;;#ASMSTART
	
             v_fmac_f32 v75, v9, v19 
             
	;;#ASMEND
	;;#ASMSTART
	
             v_fmac_f32 v54, v10, v16 
             
	;;#ASMEND
	;;#ASMSTART
	
             v_fmac_f32 v55, v10, v17 
             
	;;#ASMEND
	;;#ASMSTART
	
             v_fmac_f32 v52, v10, v18 
             
	;;#ASMEND
	;;#ASMSTART
	
             v_fmac_f32 v53, v10, v19 
             
	;;#ASMEND
	;;#ASMSTART
	
             v_fmac_f32 v72, v11, v16 
             
	;;#ASMEND
	;;#ASMSTART
	
             v_fmac_f32 v73, v11, v17 
             
	;;#ASMEND
	;;#ASMSTART
	
             v_fmac_f32 v62, v11, v18 
             
	;;#ASMEND
	;;#ASMSTART
	
             v_fmac_f32 v63, v11, v19 
             
	;;#ASMEND
	s_waitcnt lgkmcnt(1)
	;;#ASMSTART
	
             v_fmac_f32 v88, v8, v0 
             
	;;#ASMEND
	;;#ASMSTART
	
             v_fmac_f32 v89, v8, v1 
             
	;;#ASMEND
	;; [unrolled: 5-line block ×16, first 2 shown]
	ds_read_b128 v[8:11], v93 offset:4096
	s_waitcnt lgkmcnt(1)
	;;#ASMSTART
	
             v_fmac_f32 v60, v22, v16 
             
	;;#ASMEND
	;;#ASMSTART
	
             v_fmac_f32 v61, v22, v17 
             
	;;#ASMEND
	;; [unrolled: 5-line block ×16, first 2 shown]
	ds_read_b128 v[16:19], v94 offset:20480
	;;#ASMSTART
	
             v_fmac_f32 v56, v22, v0 
             
	;;#ASMEND
	;;#ASMSTART
	
             v_fmac_f32 v57, v22, v1 
             
	;;#ASMEND
	;; [unrolled: 5-line block ×16, first 2 shown]
	ds_read_b128 v[0:3], v94 offset:20736
	ds_read_b128 v[22:25], v93 offset:4352
	s_waitcnt lgkmcnt(2)
	;;#ASMSTART
	
             v_fmac_f32 v90, v8, v16 
             
	;;#ASMEND
	;;#ASMSTART
	
             v_fmac_f32 v91, v8, v17 
             
	;;#ASMEND
	;; [unrolled: 5-line block ×16, first 2 shown]
	s_waitcnt lgkmcnt(1)
	;;#ASMSTART
	
             v_fmac_f32 v88, v8, v0 
             
	;;#ASMEND
	;;#ASMSTART
	
             v_fmac_f32 v89, v8, v1 
             
	;;#ASMEND
	;; [unrolled: 5-line block ×16, first 2 shown]
	ds_read_b128 v[8:11], v93 offset:4608
	s_waitcnt lgkmcnt(1)
	;;#ASMSTART
	
             v_fmac_f32 v60, v22, v16 
             
	;;#ASMEND
	;;#ASMSTART
	
             v_fmac_f32 v61, v22, v17 
             
	;;#ASMEND
	;; [unrolled: 5-line block ×16, first 2 shown]
	ds_read_b128 v[16:19], v94 offset:20992
	;;#ASMSTART
	
             v_fmac_f32 v56, v22, v0 
             
	;;#ASMEND
	;;#ASMSTART
	
             v_fmac_f32 v57, v22, v1 
             
	;;#ASMEND
	;; [unrolled: 5-line block ×16, first 2 shown]
	ds_read_b128 v[0:3], v94 offset:21248
	ds_read_b128 v[22:25], v93 offset:4864
	s_waitcnt lgkmcnt(2)
	;;#ASMSTART
	
             v_fmac_f32 v90, v8, v16 
             
	;;#ASMEND
	;;#ASMSTART
	
             v_fmac_f32 v91, v8, v17 
             
	;;#ASMEND
	;; [unrolled: 5-line block ×16, first 2 shown]
	s_waitcnt lgkmcnt(1)
	;;#ASMSTART
	
             v_fmac_f32 v88, v8, v0 
             
	;;#ASMEND
	;;#ASMSTART
	
             v_fmac_f32 v89, v8, v1 
             
	;;#ASMEND
	;; [unrolled: 5-line block ×16, first 2 shown]
	ds_read_b128 v[8:11], v93 offset:5120
	s_waitcnt lgkmcnt(1)
	;;#ASMSTART
	
             v_fmac_f32 v60, v22, v16 
             
	;;#ASMEND
	;;#ASMSTART
	
             v_fmac_f32 v61, v22, v17 
             
	;;#ASMEND
	;; [unrolled: 5-line block ×16, first 2 shown]
	ds_read_b128 v[16:19], v94 offset:21504
	;;#ASMSTART
	
             v_fmac_f32 v56, v22, v0 
             
	;;#ASMEND
	;;#ASMSTART
	
             v_fmac_f32 v57, v22, v1 
             
	;;#ASMEND
	;; [unrolled: 5-line block ×16, first 2 shown]
	ds_read_b128 v[0:3], v94 offset:21760
	ds_read_b128 v[22:25], v93 offset:5376
	s_waitcnt lgkmcnt(2)
	;;#ASMSTART
	
             v_fmac_f32 v90, v8, v16 
             
	;;#ASMEND
	;;#ASMSTART
	
             v_fmac_f32 v91, v8, v17 
             
	;;#ASMEND
	;; [unrolled: 5-line block ×16, first 2 shown]
	s_waitcnt lgkmcnt(1)
	;;#ASMSTART
	
             v_fmac_f32 v88, v8, v0 
             
	;;#ASMEND
	;;#ASMSTART
	
             v_fmac_f32 v89, v8, v1 
             
	;;#ASMEND
	;; [unrolled: 5-line block ×16, first 2 shown]
	ds_read_b128 v[8:11], v93 offset:5632
	s_waitcnt lgkmcnt(1)
	;;#ASMSTART
	
             v_fmac_f32 v60, v22, v16 
             
	;;#ASMEND
	;;#ASMSTART
	
             v_fmac_f32 v61, v22, v17 
             
	;;#ASMEND
	;; [unrolled: 5-line block ×16, first 2 shown]
	ds_read_b128 v[16:19], v94 offset:22016
	;;#ASMSTART
	
             v_fmac_f32 v56, v22, v0 
             
	;;#ASMEND
	;;#ASMSTART
	
             v_fmac_f32 v57, v22, v1 
             
	;;#ASMEND
	;; [unrolled: 5-line block ×16, first 2 shown]
	ds_read_b128 v[0:3], v94 offset:22272
	ds_read_b128 v[22:25], v93 offset:5888
	s_waitcnt lgkmcnt(2)
	;;#ASMSTART
	
             v_fmac_f32 v90, v8, v16 
             
	;;#ASMEND
	;;#ASMSTART
	
             v_fmac_f32 v91, v8, v17 
             
	;;#ASMEND
	;; [unrolled: 5-line block ×16, first 2 shown]
	s_waitcnt lgkmcnt(1)
	;;#ASMSTART
	
             v_fmac_f32 v88, v8, v0 
             
	;;#ASMEND
	;;#ASMSTART
	
             v_fmac_f32 v89, v8, v1 
             
	;;#ASMEND
	;; [unrolled: 5-line block ×16, first 2 shown]
	ds_read_b128 v[8:11], v93 offset:6144
	s_waitcnt lgkmcnt(1)
	;;#ASMSTART
	
             v_fmac_f32 v60, v22, v16 
             
	;;#ASMEND
	;;#ASMSTART
	
             v_fmac_f32 v61, v22, v17 
             
	;;#ASMEND
	;;#ASMSTART
	
             v_fmac_f32 v58, v22, v18 
             
	;;#ASMEND
	;;#ASMSTART
	
             v_fmac_f32 v59, v22, v19 
             
	;;#ASMEND
	;;#ASMSTART
	
             v_fmac_f32 v44, v23, v16 
             
	;;#ASMEND
	;;#ASMSTART
	
             v_fmac_f32 v45, v23, v17 
             
	;;#ASMEND
	;;#ASMSTART
	
             v_fmac_f32 v42, v23, v18 
             
	;;#ASMEND
	;;#ASMSTART
	
             v_fmac_f32 v43, v23, v19 
             
	;;#ASMEND
	;;#ASMSTART
	
             v_fmac_f32 v98, v24, v16 
             
	;;#ASMEND
	;;#ASMSTART
	
             v_fmac_f32 v99, v24, v17 
             
	;;#ASMEND
	;;#ASMSTART
	
             v_fmac_f32 v96, v24, v18 
             
	;;#ASMEND
	;;#ASMSTART
	
             v_fmac_f32 v97, v24, v19 
             
	;;#ASMEND
	;;#ASMSTART
	
             v_fmac_f32 v114, v25, v16 
             
	;;#ASMEND
	;;#ASMSTART
	
             v_fmac_f32 v115, v25, v17 
             
	;;#ASMEND
	;;#ASMSTART
	
             v_fmac_f32 v112, v25, v18 
             
	;;#ASMEND
	;;#ASMSTART
	
             v_fmac_f32 v113, v25, v19 
             
	;;#ASMEND
	ds_read_b128 v[16:19], v94 offset:22528
	;;#ASMSTART
	
             v_fmac_f32 v56, v22, v0 
             
	;;#ASMEND
	;;#ASMSTART
	
             v_fmac_f32 v57, v22, v1 
             
	;;#ASMEND
	;; [unrolled: 5-line block ×16, first 2 shown]
	ds_read_b128 v[0:3], v94 offset:22784
	ds_read_b128 v[22:25], v93 offset:6400
	s_waitcnt lgkmcnt(2)
	;;#ASMSTART
	
             v_fmac_f32 v90, v8, v16 
             
	;;#ASMEND
	;;#ASMSTART
	
             v_fmac_f32 v91, v8, v17 
             
	;;#ASMEND
	;; [unrolled: 5-line block ×16, first 2 shown]
	s_waitcnt lgkmcnt(1)
	;;#ASMSTART
	
             v_fmac_f32 v88, v8, v0 
             
	;;#ASMEND
	;;#ASMSTART
	
             v_fmac_f32 v89, v8, v1 
             
	;;#ASMEND
	;; [unrolled: 5-line block ×16, first 2 shown]
	ds_read_b128 v[8:11], v93 offset:6656
	s_waitcnt lgkmcnt(1)
	;;#ASMSTART
	
             v_fmac_f32 v60, v22, v16 
             
	;;#ASMEND
	;;#ASMSTART
	
             v_fmac_f32 v61, v22, v17 
             
	;;#ASMEND
	;; [unrolled: 5-line block ×16, first 2 shown]
	ds_read_b128 v[16:19], v94 offset:23040
	;;#ASMSTART
	
             v_fmac_f32 v56, v22, v0 
             
	;;#ASMEND
	;;#ASMSTART
	
             v_fmac_f32 v57, v22, v1 
             
	;;#ASMEND
	;; [unrolled: 5-line block ×16, first 2 shown]
	ds_read_b128 v[0:3], v94 offset:23296
	ds_read_b128 v[22:25], v93 offset:6912
	s_waitcnt lgkmcnt(2)
	;;#ASMSTART
	
             v_fmac_f32 v90, v8, v16 
             
	;;#ASMEND
	;;#ASMSTART
	
             v_fmac_f32 v91, v8, v17 
             
	;;#ASMEND
	;; [unrolled: 5-line block ×16, first 2 shown]
	s_waitcnt lgkmcnt(1)
	;;#ASMSTART
	
             v_fmac_f32 v88, v8, v0 
             
	;;#ASMEND
	;;#ASMSTART
	
             v_fmac_f32 v89, v8, v1 
             
	;;#ASMEND
	;; [unrolled: 5-line block ×16, first 2 shown]
	ds_read_b128 v[8:11], v93 offset:7168
	s_waitcnt lgkmcnt(1)
	;;#ASMSTART
	
             v_fmac_f32 v60, v22, v16 
             
	;;#ASMEND
	;;#ASMSTART
	
             v_fmac_f32 v61, v22, v17 
             
	;;#ASMEND
	;; [unrolled: 5-line block ×16, first 2 shown]
	ds_read_b128 v[16:19], v94 offset:23552
	;;#ASMSTART
	
             v_fmac_f32 v56, v22, v0 
             
	;;#ASMEND
	;;#ASMSTART
	
             v_fmac_f32 v57, v22, v1 
             
	;;#ASMEND
	;; [unrolled: 5-line block ×16, first 2 shown]
	ds_read_b128 v[0:3], v94 offset:23808
	ds_read_b128 v[22:25], v93 offset:7424
	s_waitcnt lgkmcnt(2)
	;;#ASMSTART
	
             v_fmac_f32 v90, v8, v16 
             
	;;#ASMEND
	;;#ASMSTART
	
             v_fmac_f32 v91, v8, v17 
             
	;;#ASMEND
	;; [unrolled: 5-line block ×16, first 2 shown]
	s_waitcnt lgkmcnt(1)
	;;#ASMSTART
	
             v_fmac_f32 v88, v8, v0 
             
	;;#ASMEND
	;;#ASMSTART
	
             v_fmac_f32 v89, v8, v1 
             
	;;#ASMEND
	;; [unrolled: 5-line block ×16, first 2 shown]
	ds_read_b128 v[8:11], v93 offset:7680
	s_waitcnt lgkmcnt(1)
	;;#ASMSTART
	
             v_fmac_f32 v60, v22, v16 
             
	;;#ASMEND
	;;#ASMSTART
	
             v_fmac_f32 v61, v22, v17 
             
	;;#ASMEND
	;; [unrolled: 5-line block ×16, first 2 shown]
	ds_read_b128 v[16:19], v94 offset:24064
	;;#ASMSTART
	
             v_fmac_f32 v56, v22, v0 
             
	;;#ASMEND
	;;#ASMSTART
	
             v_fmac_f32 v57, v22, v1 
             
	;;#ASMEND
	;; [unrolled: 5-line block ×16, first 2 shown]
	ds_read_b128 v[0:3], v94 offset:24320
	ds_read_b128 v[22:25], v93 offset:7936
	s_waitcnt lgkmcnt(2)
	;;#ASMSTART
	
             v_fmac_f32 v90, v8, v16 
             
	;;#ASMEND
	;;#ASMSTART
	
             v_fmac_f32 v91, v8, v17 
             
	;;#ASMEND
	;; [unrolled: 5-line block ×16, first 2 shown]
	s_waitcnt lgkmcnt(1)
	;;#ASMSTART
	
             v_fmac_f32 v88, v8, v0 
             
	;;#ASMEND
	;;#ASMSTART
	
             v_fmac_f32 v89, v8, v1 
             
	;;#ASMEND
	;; [unrolled: 5-line block ×16, first 2 shown]
	s_waitcnt lgkmcnt(0)
	;;#ASMSTART
	
             v_fmac_f32 v60, v22, v16 
             
	;;#ASMEND
	;;#ASMSTART
	
             v_fmac_f32 v61, v22, v17 
             
	;;#ASMEND
	;; [unrolled: 5-line block ×29, first 2 shown]
	v_accvgpr_read_b32 v0, a8
	;;#ASMSTART
	
             v_fmac_f32 v119, v25, v1 
             
	;;#ASMEND
	;;#ASMSTART
	
             v_fmac_f32 v40, v25, v2 
             
	;;#ASMEND
	;; [unrolled: 5-line block ×3, first 2 shown]
	ds_write2st64_b32 v0, v31, v30 offset0:2 offset1:4
	ds_write2st64_b32 v0, v28, v27 offset0:6 offset1:8
	;; [unrolled: 1-line block ×3, first 2 shown]
	ds_write_b32 v0, v12 offset:3584
	ds_write2st64_b32 v95, v29, v33 offset0:32 offset1:96
	v_accvgpr_read_b32 v0, a7
	ds_write2st64_b32 v0, v32, v15 offset0:2 offset1:4
	ds_write2st64_b32 v0, v14, v35 offset0:6 offset1:8
	;; [unrolled: 1-line block ×3, first 2 shown]
	ds_write_b32 v0, v4 offset:3584
	s_waitcnt lgkmcnt(0)
	s_barrier
	ds_read_b128 v[8:11], v93 offset:8192
	ds_read_b128 v[16:19], v94 offset:24576
	;; [unrolled: 1-line block ×4, first 2 shown]
	s_waitcnt lgkmcnt(2)
	;;#ASMSTART
	
             v_fmac_f32 v90, v8, v16 
             
	;;#ASMEND
	;;#ASMSTART
	
             v_fmac_f32 v91, v8, v17 
             
	;;#ASMEND
	;; [unrolled: 5-line block ×16, first 2 shown]
	s_waitcnt lgkmcnt(1)
	;;#ASMSTART
	
             v_fmac_f32 v88, v8, v0 
             
	;;#ASMEND
	;;#ASMSTART
	
             v_fmac_f32 v89, v8, v1 
             
	;;#ASMEND
	;; [unrolled: 5-line block ×16, first 2 shown]
	ds_read_b128 v[8:11], v93 offset:8704
	s_waitcnt lgkmcnt(1)
	;;#ASMSTART
	
             v_fmac_f32 v60, v22, v16 
             
	;;#ASMEND
	;;#ASMSTART
	
             v_fmac_f32 v61, v22, v17 
             
	;;#ASMEND
	;; [unrolled: 5-line block ×16, first 2 shown]
	ds_read_b128 v[16:19], v94 offset:25088
	;;#ASMSTART
	
             v_fmac_f32 v56, v22, v0 
             
	;;#ASMEND
	;;#ASMSTART
	
             v_fmac_f32 v57, v22, v1 
             
	;;#ASMEND
	;; [unrolled: 5-line block ×16, first 2 shown]
	ds_read_b128 v[0:3], v94 offset:25344
	ds_read_b128 v[22:25], v93 offset:8960
	s_waitcnt lgkmcnt(2)
	;;#ASMSTART
	
             v_fmac_f32 v90, v8, v16 
             
	;;#ASMEND
	;;#ASMSTART
	
             v_fmac_f32 v91, v8, v17 
             
	;;#ASMEND
	;; [unrolled: 5-line block ×16, first 2 shown]
	s_waitcnt lgkmcnt(1)
	;;#ASMSTART
	
             v_fmac_f32 v88, v8, v0 
             
	;;#ASMEND
	;;#ASMSTART
	
             v_fmac_f32 v89, v8, v1 
             
	;;#ASMEND
	;; [unrolled: 5-line block ×16, first 2 shown]
	ds_read_b128 v[8:11], v93 offset:9216
	s_waitcnt lgkmcnt(1)
	;;#ASMSTART
	
             v_fmac_f32 v60, v22, v16 
             
	;;#ASMEND
	;;#ASMSTART
	
             v_fmac_f32 v61, v22, v17 
             
	;;#ASMEND
	;; [unrolled: 5-line block ×16, first 2 shown]
	ds_read_b128 v[16:19], v94 offset:25600
	;;#ASMSTART
	
             v_fmac_f32 v56, v22, v0 
             
	;;#ASMEND
	;;#ASMSTART
	
             v_fmac_f32 v57, v22, v1 
             
	;;#ASMEND
	;; [unrolled: 5-line block ×16, first 2 shown]
	ds_read_b128 v[0:3], v94 offset:25856
	ds_read_b128 v[22:25], v93 offset:9472
	s_waitcnt lgkmcnt(2)
	;;#ASMSTART
	
             v_fmac_f32 v90, v8, v16 
             
	;;#ASMEND
	;;#ASMSTART
	
             v_fmac_f32 v91, v8, v17 
             
	;;#ASMEND
	;; [unrolled: 5-line block ×16, first 2 shown]
	s_waitcnt lgkmcnt(1)
	;;#ASMSTART
	
             v_fmac_f32 v88, v8, v0 
             
	;;#ASMEND
	;;#ASMSTART
	
             v_fmac_f32 v89, v8, v1 
             
	;;#ASMEND
	;; [unrolled: 5-line block ×16, first 2 shown]
	ds_read_b128 v[8:11], v93 offset:9728
	s_waitcnt lgkmcnt(1)
	;;#ASMSTART
	
             v_fmac_f32 v60, v22, v16 
             
	;;#ASMEND
	;;#ASMSTART
	
             v_fmac_f32 v61, v22, v17 
             
	;;#ASMEND
	;;#ASMSTART
	
             v_fmac_f32 v58, v22, v18 
             
	;;#ASMEND
	;;#ASMSTART
	
             v_fmac_f32 v59, v22, v19 
             
	;;#ASMEND
	;;#ASMSTART
	
             v_fmac_f32 v44, v23, v16 
             
	;;#ASMEND
	;;#ASMSTART
	
             v_fmac_f32 v45, v23, v17 
             
	;;#ASMEND
	;;#ASMSTART
	
             v_fmac_f32 v42, v23, v18 
             
	;;#ASMEND
	;;#ASMSTART
	
             v_fmac_f32 v43, v23, v19 
             
	;;#ASMEND
	;;#ASMSTART
	
             v_fmac_f32 v98, v24, v16 
             
	;;#ASMEND
	;;#ASMSTART
	
             v_fmac_f32 v99, v24, v17 
             
	;;#ASMEND
	;;#ASMSTART
	
             v_fmac_f32 v96, v24, v18 
             
	;;#ASMEND
	;;#ASMSTART
	
             v_fmac_f32 v97, v24, v19 
             
	;;#ASMEND
	;;#ASMSTART
	
             v_fmac_f32 v114, v25, v16 
             
	;;#ASMEND
	;;#ASMSTART
	
             v_fmac_f32 v115, v25, v17 
             
	;;#ASMEND
	;;#ASMSTART
	
             v_fmac_f32 v112, v25, v18 
             
	;;#ASMEND
	;;#ASMSTART
	
             v_fmac_f32 v113, v25, v19 
             
	;;#ASMEND
	ds_read_b128 v[16:19], v94 offset:26112
	;;#ASMSTART
	
             v_fmac_f32 v56, v22, v0 
             
	;;#ASMEND
	;;#ASMSTART
	
             v_fmac_f32 v57, v22, v1 
             
	;;#ASMEND
	;; [unrolled: 5-line block ×16, first 2 shown]
	ds_read_b128 v[0:3], v94 offset:26368
	ds_read_b128 v[22:25], v93 offset:9984
	s_waitcnt lgkmcnt(2)
	;;#ASMSTART
	
             v_fmac_f32 v90, v8, v16 
             
	;;#ASMEND
	;;#ASMSTART
	
             v_fmac_f32 v91, v8, v17 
             
	;;#ASMEND
	;; [unrolled: 5-line block ×16, first 2 shown]
	s_waitcnt lgkmcnt(1)
	;;#ASMSTART
	
             v_fmac_f32 v88, v8, v0 
             
	;;#ASMEND
	;;#ASMSTART
	
             v_fmac_f32 v89, v8, v1 
             
	;;#ASMEND
	;; [unrolled: 5-line block ×16, first 2 shown]
	ds_read_b128 v[8:11], v93 offset:10240
	s_waitcnt lgkmcnt(1)
	;;#ASMSTART
	
             v_fmac_f32 v60, v22, v16 
             
	;;#ASMEND
	;;#ASMSTART
	
             v_fmac_f32 v61, v22, v17 
             
	;;#ASMEND
	;; [unrolled: 5-line block ×16, first 2 shown]
	ds_read_b128 v[16:19], v94 offset:26624
	;;#ASMSTART
	
             v_fmac_f32 v56, v22, v0 
             
	;;#ASMEND
	;;#ASMSTART
	
             v_fmac_f32 v57, v22, v1 
             
	;;#ASMEND
	;; [unrolled: 5-line block ×16, first 2 shown]
	ds_read_b128 v[0:3], v94 offset:26880
	ds_read_b128 v[22:25], v93 offset:10496
	s_waitcnt lgkmcnt(2)
	;;#ASMSTART
	
             v_fmac_f32 v90, v8, v16 
             
	;;#ASMEND
	;;#ASMSTART
	
             v_fmac_f32 v91, v8, v17 
             
	;;#ASMEND
	;; [unrolled: 5-line block ×16, first 2 shown]
	s_waitcnt lgkmcnt(1)
	;;#ASMSTART
	
             v_fmac_f32 v88, v8, v0 
             
	;;#ASMEND
	;;#ASMSTART
	
             v_fmac_f32 v89, v8, v1 
             
	;;#ASMEND
	;; [unrolled: 5-line block ×16, first 2 shown]
	ds_read_b128 v[8:11], v93 offset:10752
	s_waitcnt lgkmcnt(1)
	;;#ASMSTART
	
             v_fmac_f32 v60, v22, v16 
             
	;;#ASMEND
	;;#ASMSTART
	
             v_fmac_f32 v61, v22, v17 
             
	;;#ASMEND
	;; [unrolled: 5-line block ×16, first 2 shown]
	ds_read_b128 v[16:19], v94 offset:27136
	;;#ASMSTART
	
             v_fmac_f32 v56, v22, v0 
             
	;;#ASMEND
	;;#ASMSTART
	
             v_fmac_f32 v57, v22, v1 
             
	;;#ASMEND
	;; [unrolled: 5-line block ×16, first 2 shown]
	ds_read_b128 v[0:3], v94 offset:27392
	ds_read_b128 v[22:25], v93 offset:11008
	s_waitcnt lgkmcnt(2)
	;;#ASMSTART
	
             v_fmac_f32 v90, v8, v16 
             
	;;#ASMEND
	;;#ASMSTART
	
             v_fmac_f32 v91, v8, v17 
             
	;;#ASMEND
	;; [unrolled: 5-line block ×16, first 2 shown]
	s_waitcnt lgkmcnt(1)
	;;#ASMSTART
	
             v_fmac_f32 v88, v8, v0 
             
	;;#ASMEND
	;;#ASMSTART
	
             v_fmac_f32 v89, v8, v1 
             
	;;#ASMEND
	;; [unrolled: 5-line block ×16, first 2 shown]
	ds_read_b128 v[8:11], v93 offset:11264
	s_waitcnt lgkmcnt(1)
	;;#ASMSTART
	
             v_fmac_f32 v60, v22, v16 
             
	;;#ASMEND
	;;#ASMSTART
	
             v_fmac_f32 v61, v22, v17 
             
	;;#ASMEND
	;; [unrolled: 5-line block ×16, first 2 shown]
	ds_read_b128 v[16:19], v94 offset:27648
	;;#ASMSTART
	
             v_fmac_f32 v56, v22, v0 
             
	;;#ASMEND
	;;#ASMSTART
	
             v_fmac_f32 v57, v22, v1 
             
	;;#ASMEND
	;; [unrolled: 5-line block ×16, first 2 shown]
	ds_read_b128 v[0:3], v94 offset:27904
	ds_read_b128 v[22:25], v93 offset:11520
	s_waitcnt lgkmcnt(2)
	;;#ASMSTART
	
             v_fmac_f32 v90, v8, v16 
             
	;;#ASMEND
	;;#ASMSTART
	
             v_fmac_f32 v91, v8, v17 
             
	;;#ASMEND
	;; [unrolled: 5-line block ×16, first 2 shown]
	s_waitcnt lgkmcnt(1)
	;;#ASMSTART
	
             v_fmac_f32 v88, v8, v0 
             
	;;#ASMEND
	;;#ASMSTART
	
             v_fmac_f32 v89, v8, v1 
             
	;;#ASMEND
	;; [unrolled: 5-line block ×16, first 2 shown]
	ds_read_b128 v[8:11], v93 offset:11776
	s_waitcnt lgkmcnt(1)
	;;#ASMSTART
	
             v_fmac_f32 v60, v22, v16 
             
	;;#ASMEND
	;;#ASMSTART
	
             v_fmac_f32 v61, v22, v17 
             
	;;#ASMEND
	;; [unrolled: 5-line block ×16, first 2 shown]
	ds_read_b128 v[16:19], v94 offset:28160
	;;#ASMSTART
	
             v_fmac_f32 v56, v22, v0 
             
	;;#ASMEND
	;;#ASMSTART
	
             v_fmac_f32 v57, v22, v1 
             
	;;#ASMEND
	;; [unrolled: 5-line block ×16, first 2 shown]
	ds_read_b128 v[0:3], v94 offset:28416
	ds_read_b128 v[22:25], v93 offset:12032
	s_waitcnt lgkmcnt(2)
	;;#ASMSTART
	
             v_fmac_f32 v90, v8, v16 
             
	;;#ASMEND
	;;#ASMSTART
	
             v_fmac_f32 v91, v8, v17 
             
	;;#ASMEND
	;; [unrolled: 5-line block ×16, first 2 shown]
	s_waitcnt lgkmcnt(1)
	;;#ASMSTART
	
             v_fmac_f32 v88, v8, v0 
             
	;;#ASMEND
	;;#ASMSTART
	
             v_fmac_f32 v89, v8, v1 
             
	;;#ASMEND
	;; [unrolled: 5-line block ×16, first 2 shown]
	ds_read_b128 v[8:11], v93 offset:12288
	s_waitcnt lgkmcnt(1)
	;;#ASMSTART
	
             v_fmac_f32 v60, v22, v16 
             
	;;#ASMEND
	;;#ASMSTART
	
             v_fmac_f32 v61, v22, v17 
             
	;;#ASMEND
	;; [unrolled: 5-line block ×16, first 2 shown]
	ds_read_b128 v[16:19], v94 offset:28672
	;;#ASMSTART
	
             v_fmac_f32 v56, v22, v0 
             
	;;#ASMEND
	;;#ASMSTART
	
             v_fmac_f32 v57, v22, v1 
             
	;;#ASMEND
	;; [unrolled: 5-line block ×16, first 2 shown]
	ds_read_b128 v[0:3], v94 offset:28928
	ds_read_b128 v[22:25], v93 offset:12544
	s_waitcnt lgkmcnt(2)
	;;#ASMSTART
	
             v_fmac_f32 v90, v8, v16 
             
	;;#ASMEND
	;;#ASMSTART
	
             v_fmac_f32 v91, v8, v17 
             
	;;#ASMEND
	;; [unrolled: 5-line block ×16, first 2 shown]
	s_waitcnt lgkmcnt(1)
	;;#ASMSTART
	
             v_fmac_f32 v88, v8, v0 
             
	;;#ASMEND
	;;#ASMSTART
	
             v_fmac_f32 v89, v8, v1 
             
	;;#ASMEND
	;; [unrolled: 5-line block ×16, first 2 shown]
	ds_read_b128 v[8:11], v93 offset:12800
	s_waitcnt lgkmcnt(1)
	;;#ASMSTART
	
             v_fmac_f32 v60, v22, v16 
             
	;;#ASMEND
	;;#ASMSTART
	
             v_fmac_f32 v61, v22, v17 
             
	;;#ASMEND
	;; [unrolled: 5-line block ×16, first 2 shown]
	ds_read_b128 v[16:19], v94 offset:29184
	;;#ASMSTART
	
             v_fmac_f32 v56, v22, v0 
             
	;;#ASMEND
	;;#ASMSTART
	
             v_fmac_f32 v57, v22, v1 
             
	;;#ASMEND
	;;#ASMSTART
	
             v_fmac_f32 v46, v22, v2 
             
	;;#ASMEND
	;;#ASMSTART
	
             v_fmac_f32 v47, v22, v3 
             
	;;#ASMEND
	;;#ASMSTART
	
             v_fmac_f32 v86, v23, v0 
             
	;;#ASMEND
	;;#ASMSTART
	
             v_fmac_f32 v87, v23, v1 
             
	;;#ASMEND
	;;#ASMSTART
	
             v_fmac_f32 v84, v23, v2 
             
	;;#ASMEND
	;;#ASMSTART
	
             v_fmac_f32 v85, v23, v3 
             
	;;#ASMEND
	;;#ASMSTART
	
             v_fmac_f32 v102, v24, v0 
             
	;;#ASMEND
	;;#ASMSTART
	
             v_fmac_f32 v103, v24, v1 
             
	;;#ASMEND
	;;#ASMSTART
	
             v_fmac_f32 v100, v24, v2 
             
	;;#ASMEND
	;;#ASMSTART
	
             v_fmac_f32 v101, v24, v3 
             
	;;#ASMEND
	;;#ASMSTART
	
             v_fmac_f32 v118, v25, v0 
             
	;;#ASMEND
	;;#ASMSTART
	
             v_fmac_f32 v119, v25, v1 
             
	;;#ASMEND
	;;#ASMSTART
	
             v_fmac_f32 v40, v25, v2 
             
	;;#ASMEND
	;;#ASMSTART
	
             v_fmac_f32 v41, v25, v3 
             
	;;#ASMEND
	ds_read_b128 v[0:3], v94 offset:29440
	ds_read_b128 v[22:25], v93 offset:13056
	s_waitcnt lgkmcnt(2)
	;;#ASMSTART
	
             v_fmac_f32 v90, v8, v16 
             
	;;#ASMEND
	;;#ASMSTART
	
             v_fmac_f32 v91, v8, v17 
             
	;;#ASMEND
	;; [unrolled: 5-line block ×16, first 2 shown]
	s_waitcnt lgkmcnt(1)
	;;#ASMSTART
	
             v_fmac_f32 v88, v8, v0 
             
	;;#ASMEND
	;;#ASMSTART
	
             v_fmac_f32 v89, v8, v1 
             
	;;#ASMEND
	;; [unrolled: 5-line block ×16, first 2 shown]
	ds_read_b128 v[8:11], v93 offset:13312
	s_waitcnt lgkmcnt(1)
	;;#ASMSTART
	
             v_fmac_f32 v60, v22, v16 
             
	;;#ASMEND
	;;#ASMSTART
	
             v_fmac_f32 v61, v22, v17 
             
	;;#ASMEND
	;; [unrolled: 5-line block ×16, first 2 shown]
	ds_read_b128 v[16:19], v94 offset:29696
	;;#ASMSTART
	
             v_fmac_f32 v56, v22, v0 
             
	;;#ASMEND
	;;#ASMSTART
	
             v_fmac_f32 v57, v22, v1 
             
	;;#ASMEND
	;; [unrolled: 5-line block ×16, first 2 shown]
	ds_read_b128 v[0:3], v94 offset:29952
	ds_read_b128 v[22:25], v93 offset:13568
	s_waitcnt lgkmcnt(2)
	;;#ASMSTART
	
             v_fmac_f32 v90, v8, v16 
             
	;;#ASMEND
	;;#ASMSTART
	
             v_fmac_f32 v91, v8, v17 
             
	;;#ASMEND
	;; [unrolled: 5-line block ×16, first 2 shown]
	s_waitcnt lgkmcnt(1)
	;;#ASMSTART
	
             v_fmac_f32 v88, v8, v0 
             
	;;#ASMEND
	;;#ASMSTART
	
             v_fmac_f32 v89, v8, v1 
             
	;;#ASMEND
	;; [unrolled: 5-line block ×16, first 2 shown]
	ds_read_b128 v[8:11], v93 offset:13824
	s_waitcnt lgkmcnt(1)
	;;#ASMSTART
	
             v_fmac_f32 v60, v22, v16 
             
	;;#ASMEND
	;;#ASMSTART
	
             v_fmac_f32 v61, v22, v17 
             
	;;#ASMEND
	;; [unrolled: 5-line block ×16, first 2 shown]
	ds_read_b128 v[16:19], v94 offset:30208
	;;#ASMSTART
	
             v_fmac_f32 v56, v22, v0 
             
	;;#ASMEND
	;;#ASMSTART
	
             v_fmac_f32 v57, v22, v1 
             
	;;#ASMEND
	;; [unrolled: 5-line block ×16, first 2 shown]
	ds_read_b128 v[0:3], v94 offset:30464
	ds_read_b128 v[22:25], v93 offset:14080
	s_waitcnt lgkmcnt(2)
	;;#ASMSTART
	
             v_fmac_f32 v90, v8, v16 
             
	;;#ASMEND
	;;#ASMSTART
	
             v_fmac_f32 v91, v8, v17 
             
	;;#ASMEND
	;; [unrolled: 5-line block ×16, first 2 shown]
	s_waitcnt lgkmcnt(1)
	;;#ASMSTART
	
             v_fmac_f32 v88, v8, v0 
             
	;;#ASMEND
	;;#ASMSTART
	
             v_fmac_f32 v89, v8, v1 
             
	;;#ASMEND
	;; [unrolled: 5-line block ×16, first 2 shown]
	ds_read_b128 v[8:11], v93 offset:14336
	s_waitcnt lgkmcnt(1)
	;;#ASMSTART
	
             v_fmac_f32 v60, v22, v16 
             
	;;#ASMEND
	;;#ASMSTART
	
             v_fmac_f32 v61, v22, v17 
             
	;;#ASMEND
	;; [unrolled: 5-line block ×16, first 2 shown]
	ds_read_b128 v[16:19], v94 offset:30720
	;;#ASMSTART
	
             v_fmac_f32 v56, v22, v0 
             
	;;#ASMEND
	;;#ASMSTART
	
             v_fmac_f32 v57, v22, v1 
             
	;;#ASMEND
	;; [unrolled: 5-line block ×16, first 2 shown]
	ds_read_b128 v[0:3], v94 offset:30976
	ds_read_b128 v[22:25], v93 offset:14592
	s_waitcnt lgkmcnt(2)
	;;#ASMSTART
	
             v_fmac_f32 v90, v8, v16 
             
	;;#ASMEND
	;;#ASMSTART
	
             v_fmac_f32 v91, v8, v17 
             
	;;#ASMEND
	;;#ASMSTART
	
             v_fmac_f32 v38, v8, v18 
             
	;;#ASMEND
	;;#ASMSTART
	
             v_fmac_f32 v39, v8, v19 
             
	;;#ASMEND
	;;#ASMSTART
	
             v_fmac_f32 v76, v9, v16 
             
	;;#ASMEND
	;;#ASMSTART
	
             v_fmac_f32 v77, v9, v17 
             
	;;#ASMEND
	;;#ASMSTART
	
             v_fmac_f32 v74, v9, v18 
             
	;;#ASMEND
	;;#ASMSTART
	
             v_fmac_f32 v75, v9, v19 
             
	;;#ASMEND
	;;#ASMSTART
	
             v_fmac_f32 v54, v10, v16 
             
	;;#ASMEND
	;;#ASMSTART
	
             v_fmac_f32 v55, v10, v17 
             
	;;#ASMEND
	;;#ASMSTART
	
             v_fmac_f32 v52, v10, v18 
             
	;;#ASMEND
	;;#ASMSTART
	
             v_fmac_f32 v53, v10, v19 
             
	;;#ASMEND
	;;#ASMSTART
	
             v_fmac_f32 v72, v11, v16 
             
	;;#ASMEND
	;;#ASMSTART
	
             v_fmac_f32 v73, v11, v17 
             
	;;#ASMEND
	;;#ASMSTART
	
             v_fmac_f32 v62, v11, v18 
             
	;;#ASMEND
	;;#ASMSTART
	
             v_fmac_f32 v63, v11, v19 
             
	;;#ASMEND
	s_waitcnt lgkmcnt(1)
	;;#ASMSTART
	
             v_fmac_f32 v88, v8, v0 
             
	;;#ASMEND
	;;#ASMSTART
	
             v_fmac_f32 v89, v8, v1 
             
	;;#ASMEND
	;; [unrolled: 5-line block ×16, first 2 shown]
	ds_read_b128 v[8:11], v93 offset:14848
	s_waitcnt lgkmcnt(1)
	;;#ASMSTART
	
             v_fmac_f32 v60, v22, v16 
             
	;;#ASMEND
	;;#ASMSTART
	
             v_fmac_f32 v61, v22, v17 
             
	;;#ASMEND
	;;#ASMSTART
	
             v_fmac_f32 v58, v22, v18 
             
	;;#ASMEND
	;;#ASMSTART
	
             v_fmac_f32 v59, v22, v19 
             
	;;#ASMEND
	;;#ASMSTART
	
             v_fmac_f32 v44, v23, v16 
             
	;;#ASMEND
	;;#ASMSTART
	
             v_fmac_f32 v45, v23, v17 
             
	;;#ASMEND
	;;#ASMSTART
	
             v_fmac_f32 v42, v23, v18 
             
	;;#ASMEND
	;;#ASMSTART
	
             v_fmac_f32 v43, v23, v19 
             
	;;#ASMEND
	;;#ASMSTART
	
             v_fmac_f32 v98, v24, v16 
             
	;;#ASMEND
	;;#ASMSTART
	
             v_fmac_f32 v99, v24, v17 
             
	;;#ASMEND
	;;#ASMSTART
	
             v_fmac_f32 v96, v24, v18 
             
	;;#ASMEND
	;;#ASMSTART
	
             v_fmac_f32 v97, v24, v19 
             
	;;#ASMEND
	;;#ASMSTART
	
             v_fmac_f32 v114, v25, v16 
             
	;;#ASMEND
	;;#ASMSTART
	
             v_fmac_f32 v115, v25, v17 
             
	;;#ASMEND
	;;#ASMSTART
	
             v_fmac_f32 v112, v25, v18 
             
	;;#ASMEND
	;;#ASMSTART
	
             v_fmac_f32 v113, v25, v19 
             
	;;#ASMEND
	ds_read_b128 v[16:19], v94 offset:31232
	;;#ASMSTART
	
             v_fmac_f32 v56, v22, v0 
             
	;;#ASMEND
	;;#ASMSTART
	
             v_fmac_f32 v57, v22, v1 
             
	;;#ASMEND
	;; [unrolled: 5-line block ×16, first 2 shown]
	ds_read_b128 v[0:3], v94 offset:31488
	ds_read_b128 v[22:25], v93 offset:15104
	s_waitcnt lgkmcnt(2)
	;;#ASMSTART
	
             v_fmac_f32 v90, v8, v16 
             
	;;#ASMEND
	;;#ASMSTART
	
             v_fmac_f32 v91, v8, v17 
             
	;;#ASMEND
	;; [unrolled: 5-line block ×16, first 2 shown]
	s_waitcnt lgkmcnt(1)
	;;#ASMSTART
	
             v_fmac_f32 v88, v8, v0 
             
	;;#ASMEND
	;;#ASMSTART
	
             v_fmac_f32 v89, v8, v1 
             
	;;#ASMEND
	;; [unrolled: 5-line block ×16, first 2 shown]
	ds_read_b128 v[8:11], v93 offset:15360
	s_waitcnt lgkmcnt(1)
	;;#ASMSTART
	
             v_fmac_f32 v60, v22, v16 
             
	;;#ASMEND
	;;#ASMSTART
	
             v_fmac_f32 v61, v22, v17 
             
	;;#ASMEND
	;; [unrolled: 5-line block ×16, first 2 shown]
	ds_read_b128 v[16:19], v94 offset:31744
	;;#ASMSTART
	
             v_fmac_f32 v56, v22, v0 
             
	;;#ASMEND
	;;#ASMSTART
	
             v_fmac_f32 v57, v22, v1 
             
	;;#ASMEND
	;;#ASMSTART
	
             v_fmac_f32 v46, v22, v2 
             
	;;#ASMEND
	;;#ASMSTART
	
             v_fmac_f32 v47, v22, v3 
             
	;;#ASMEND
	;;#ASMSTART
	
             v_fmac_f32 v86, v23, v0 
             
	;;#ASMEND
	;;#ASMSTART
	
             v_fmac_f32 v87, v23, v1 
             
	;;#ASMEND
	;;#ASMSTART
	
             v_fmac_f32 v84, v23, v2 
             
	;;#ASMEND
	;;#ASMSTART
	
             v_fmac_f32 v85, v23, v3 
             
	;;#ASMEND
	;;#ASMSTART
	
             v_fmac_f32 v102, v24, v0 
             
	;;#ASMEND
	;;#ASMSTART
	
             v_fmac_f32 v103, v24, v1 
             
	;;#ASMEND
	;;#ASMSTART
	
             v_fmac_f32 v100, v24, v2 
             
	;;#ASMEND
	;;#ASMSTART
	
             v_fmac_f32 v101, v24, v3 
             
	;;#ASMEND
	;;#ASMSTART
	
             v_fmac_f32 v118, v25, v0 
             
	;;#ASMEND
	;;#ASMSTART
	
             v_fmac_f32 v119, v25, v1 
             
	;;#ASMEND
	;;#ASMSTART
	
             v_fmac_f32 v40, v25, v2 
             
	;;#ASMEND
	;;#ASMSTART
	
             v_fmac_f32 v41, v25, v3 
             
	;;#ASMEND
	ds_read_b128 v[0:3], v94 offset:32000
	ds_read_b128 v[22:25], v93 offset:15616
	s_waitcnt lgkmcnt(2)
	;;#ASMSTART
	
             v_fmac_f32 v90, v8, v16 
             
	;;#ASMEND
	;;#ASMSTART
	
             v_fmac_f32 v91, v8, v17 
             
	;;#ASMEND
	;; [unrolled: 5-line block ×16, first 2 shown]
	s_waitcnt lgkmcnt(1)
	;;#ASMSTART
	
             v_fmac_f32 v88, v8, v0 
             
	;;#ASMEND
	;;#ASMSTART
	
             v_fmac_f32 v89, v8, v1 
             
	;;#ASMEND
	;;#ASMSTART
	
             v_fmac_f32 v78, v8, v2 
             
	;;#ASMEND
	;;#ASMSTART
	
             v_fmac_f32 v79, v8, v3 
             
	;;#ASMEND
	;;#ASMSTART
	
             v_fmac_f32 v70, v9, v0 
             
	;;#ASMEND
	;;#ASMSTART
	
             v_fmac_f32 v71, v9, v1 
             
	;;#ASMEND
	;;#ASMSTART
	
             v_fmac_f32 v68, v9, v2 
             
	;;#ASMEND
	;;#ASMSTART
	
             v_fmac_f32 v69, v9, v3 
             
	;;#ASMEND
	;;#ASMSTART
	
             v_fmac_f32 v66, v10, v0 
             
	;;#ASMEND
	;;#ASMSTART
	
             v_fmac_f32 v67, v10, v1 
             
	;;#ASMEND
	;;#ASMSTART
	
             v_fmac_f32 v64, v10, v2 
             
	;;#ASMEND
	;;#ASMSTART
	
             v_fmac_f32 v65, v10, v3 
             
	;;#ASMEND
	;;#ASMSTART
	
             v_fmac_f32 v82, v11, v0 
             
	;;#ASMEND
	;;#ASMSTART
	
             v_fmac_f32 v83, v11, v1 
             
	;;#ASMEND
	;;#ASMSTART
	
             v_fmac_f32 v80, v11, v2 
             
	;;#ASMEND
	;;#ASMSTART
	
             v_fmac_f32 v81, v11, v3 
             
	;;#ASMEND
	ds_read_b128 v[8:11], v93 offset:15872
	s_waitcnt lgkmcnt(1)
	;;#ASMSTART
	
             v_fmac_f32 v60, v22, v16 
             
	;;#ASMEND
	;;#ASMSTART
	
             v_fmac_f32 v61, v22, v17 
             
	;;#ASMEND
	;; [unrolled: 5-line block ×16, first 2 shown]
	ds_read_b128 v[16:19], v94 offset:32256
	;;#ASMSTART
	
             v_fmac_f32 v56, v22, v0 
             
	;;#ASMEND
	;;#ASMSTART
	
             v_fmac_f32 v57, v22, v1 
             
	;;#ASMEND
	;; [unrolled: 5-line block ×16, first 2 shown]
	ds_read_b128 v[0:3], v94 offset:32512
	ds_read_b128 v[22:25], v93 offset:16128
	s_waitcnt lgkmcnt(2)
	;;#ASMSTART
	
             v_fmac_f32 v90, v8, v16 
             
	;;#ASMEND
	;;#ASMSTART
	
             v_fmac_f32 v91, v8, v17 
             
	;;#ASMEND
	;; [unrolled: 5-line block ×16, first 2 shown]
	s_waitcnt lgkmcnt(1)
	;;#ASMSTART
	
             v_fmac_f32 v88, v8, v0 
             
	;;#ASMEND
	;;#ASMSTART
	
             v_fmac_f32 v89, v8, v1 
             
	;;#ASMEND
	;; [unrolled: 5-line block ×16, first 2 shown]
	s_waitcnt lgkmcnt(0)
	;;#ASMSTART
	
             v_fmac_f32 v60, v22, v16 
             
	;;#ASMEND
	;;#ASMSTART
	
             v_fmac_f32 v61, v22, v17 
             
	;;#ASMEND
	;; [unrolled: 5-line block ×30, first 2 shown]
	v_accvgpr_read_b32 v0, a4
	v_accvgpr_read_b32 v1, a5
	;;#ASMSTART
	
             v_fmac_f32 v40, v25, v2 
             
	;;#ASMEND
	;;#ASMSTART
	
             v_fmac_f32 v41, v25, v3 
             
	;;#ASMEND
	flat_load_dwordx2 v[4:5], v[0:1] offset:8
	flat_load_dword v10, v[0:1] offset:32
	flat_load_dword v93, v[0:1] offset:20
	s_nop 0
	flat_load_dword v1, v[0:1] offset:72
	v_accvgpr_read_b32 v0, a3
	v_lshl_add_u32 v14, s18, 7, v0
	v_accvgpr_read_b32 v0, a6
	v_lshl_add_u32 v92, s19, 7, v0
	v_mov_b32_e32 v23, 0x20000
	s_mov_b64 s[16:17], exec
	s_waitcnt vmcnt(0) lgkmcnt(0)
	v_mul_lo_u32 v0, v4, v92
	v_cmp_gt_i32_e32 vcc, v10, v14
	v_cmp_gt_i32_e64 s[6:7], v93, v92
	v_mad_u64_u32 v[8:9], s[4:5], v5, v14, v[0:1]
	s_and_b64 s[4:5], s[6:7], vcc
	v_lshlrev_b32_e32 v22, 2, v1
	v_lshlrev_b32_e32 v9, 2, v8
.LBB1_35:                               ; =>This Inner Loop Header: Depth=1
	v_readfirstlane_b32 s12, v20
	v_readfirstlane_b32 s13, v21
	;; [unrolled: 1-line block ×4, first 2 shown]
	v_cmp_eq_u64_e64 s[8:9], s[12:13], v[20:21]
	v_cmp_eq_u64_e64 s[10:11], s[14:15], v[22:23]
	s_and_b64 s[8:9], s[8:9], s[10:11]
	s_and_saveexec_b64 s[8:9], s[8:9]
	s_nop 0
	buffer_load_dwordx4 v[0:3], v9, s[12:15], 0 offen
                                        ; implicit-def: $vgpr9
	s_xor_b64 exec, exec, s[8:9]
	s_cbranch_execnz .LBB1_35
; %bb.36:
	s_mov_b64 exec, s[16:17]
	s_waitcnt vmcnt(0)
	v_cndmask_b32_e64 v3, 0, v3, s[4:5]
	v_cndmask_b32_e64 v2, 0, v2, s[4:5]
	;; [unrolled: 1-line block ×4, first 2 shown]
	v_add_u32_e32 v15, 64, v14
	v_pk_add_f32 v[0:1], v[90:91], v[0:1]
	v_pk_add_f32 v[2:3], v[38:39], v[2:3]
	v_lshlrev_b32_e32 v5, 6, v5
	v_cmp_gt_i32_e64 s[4:5], v10, v15
	v_max_f32_e32 v39, 0, v3
	v_max_f32_e32 v38, 0, v2
	;; [unrolled: 1-line block ×4, first 2 shown]
	s_and_b64 s[6:7], s[6:7], s[4:5]
	v_add_lshl_u32 v9, v8, v5, 2
	s_mov_b64 s[16:17], exec
.LBB1_37:                               ; =>This Inner Loop Header: Depth=1
	v_readfirstlane_b32 s12, v20
	v_readfirstlane_b32 s13, v21
	;; [unrolled: 1-line block ×4, first 2 shown]
	v_cmp_eq_u64_e64 s[8:9], s[12:13], v[20:21]
	v_cmp_eq_u64_e64 s[10:11], s[14:15], v[22:23]
	s_and_b64 s[8:9], s[8:9], s[10:11]
	s_and_saveexec_b64 s[8:9], s[8:9]
	s_nop 0
	buffer_load_dwordx4 v[0:3], v9, s[12:15], 0 offen
                                        ; implicit-def: $vgpr9
	s_xor_b64 exec, exec, s[8:9]
	s_cbranch_execnz .LBB1_37
; %bb.38:
	s_mov_b64 exec, s[16:17]
	s_waitcnt vmcnt(0)
	v_cndmask_b32_e64 v3, 0, v3, s[6:7]
	v_cndmask_b32_e64 v2, 0, v2, s[6:7]
	;; [unrolled: 1-line block ×4, first 2 shown]
	v_pk_add_f32 v[2:3], v[78:79], v[2:3]
	v_or_b32_e32 v78, 1, v92
	v_pk_add_f32 v[0:1], v[88:89], v[0:1]
	v_add_u32_e32 v8, v8, v4
	v_cmp_gt_i32_e64 s[6:7], v93, v78
	v_max_f32_e32 v51, 0, v3
	v_max_f32_e32 v50, 0, v2
	;; [unrolled: 1-line block ×4, first 2 shown]
	s_and_b64 s[8:9], s[6:7], vcc
	v_lshlrev_b32_e32 v9, 2, v8
	s_mov_b64 s[14:15], exec
.LBB1_39:                               ; =>This Inner Loop Header: Depth=1
	v_readfirstlane_b32 s16, v20
	v_readfirstlane_b32 s17, v21
	;; [unrolled: 1-line block ×4, first 2 shown]
	v_cmp_eq_u64_e64 s[10:11], s[16:17], v[20:21]
	v_cmp_eq_u64_e64 s[12:13], s[18:19], v[22:23]
	s_and_b64 s[10:11], s[10:11], s[12:13]
	s_and_saveexec_b64 s[10:11], s[10:11]
	s_nop 0
	buffer_load_dwordx4 v[0:3], v9, s[16:19], 0 offen
                                        ; implicit-def: $vgpr9
	s_xor_b64 exec, exec, s[10:11]
	s_cbranch_execnz .LBB1_39
; %bb.40:
	s_mov_b64 exec, s[14:15]
	s_waitcnt vmcnt(0)
	v_cndmask_b32_e64 v3, 0, v3, s[8:9]
	v_cndmask_b32_e64 v2, 0, v2, s[8:9]
	v_cndmask_b32_e64 v1, 0, v1, s[8:9]
	v_cndmask_b32_e64 v0, 0, v0, s[8:9]
	v_pk_add_f32 v[0:1], v[76:77], v[0:1]
	v_pk_add_f32 v[2:3], v[74:75], v[2:3]
	v_max_f32_e32 v19, 0, v3
	v_max_f32_e32 v18, 0, v2
	;; [unrolled: 1-line block ×4, first 2 shown]
	s_and_b64 s[6:7], s[6:7], s[4:5]
	v_add_lshl_u32 v9, v8, v5, 2
	s_mov_b64 s[16:17], exec
.LBB1_41:                               ; =>This Inner Loop Header: Depth=1
	v_readfirstlane_b32 s12, v20
	v_readfirstlane_b32 s13, v21
	;; [unrolled: 1-line block ×4, first 2 shown]
	v_cmp_eq_u64_e64 s[8:9], s[12:13], v[20:21]
	v_cmp_eq_u64_e64 s[10:11], s[14:15], v[22:23]
	s_and_b64 s[8:9], s[8:9], s[10:11]
	s_and_saveexec_b64 s[8:9], s[8:9]
	s_nop 0
	buffer_load_dwordx4 v[0:3], v9, s[12:15], 0 offen
                                        ; implicit-def: $vgpr9
	s_xor_b64 exec, exec, s[8:9]
	s_cbranch_execnz .LBB1_41
; %bb.42:
	s_mov_b64 exec, s[16:17]
	s_waitcnt vmcnt(0)
	v_cndmask_b32_e64 v3, 0, v3, s[6:7]
	v_cndmask_b32_e64 v2, 0, v2, s[6:7]
	;; [unrolled: 1-line block ×4, first 2 shown]
	v_or_b32_e32 v74, 2, v92
	v_pk_add_f32 v[0:1], v[70:71], v[0:1]
	v_pk_add_f32 v[2:3], v[68:69], v[2:3]
	v_add_u32_e32 v8, v8, v4
	v_cmp_gt_i32_e64 s[6:7], v93, v74
	v_max_f32_e32 v71, 0, v3
	v_max_f32_e32 v70, 0, v2
	;; [unrolled: 1-line block ×4, first 2 shown]
	s_and_b64 s[8:9], s[6:7], vcc
	v_lshlrev_b32_e32 v9, 2, v8
	s_mov_b64 s[14:15], exec
.LBB1_43:                               ; =>This Inner Loop Header: Depth=1
	v_readfirstlane_b32 s16, v20
	v_readfirstlane_b32 s17, v21
	;; [unrolled: 1-line block ×4, first 2 shown]
	v_cmp_eq_u64_e64 s[10:11], s[16:17], v[20:21]
	v_cmp_eq_u64_e64 s[12:13], s[18:19], v[22:23]
	s_and_b64 s[10:11], s[10:11], s[12:13]
	s_and_saveexec_b64 s[10:11], s[10:11]
	s_nop 0
	buffer_load_dwordx4 v[0:3], v9, s[16:19], 0 offen
                                        ; implicit-def: $vgpr9
	s_xor_b64 exec, exec, s[10:11]
	s_cbranch_execnz .LBB1_43
; %bb.44:
	s_mov_b64 exec, s[14:15]
	s_waitcnt vmcnt(0)
	v_cndmask_b32_e64 v3, 0, v3, s[8:9]
	v_cndmask_b32_e64 v2, 0, v2, s[8:9]
	;; [unrolled: 1-line block ×4, first 2 shown]
	v_pk_add_f32 v[0:1], v[54:55], v[0:1]
	v_pk_add_f32 v[2:3], v[52:53], v[2:3]
	v_max_f32_e32 v55, 0, v3
	v_max_f32_e32 v54, 0, v2
	v_max_f32_e32 v53, 0, v1
	v_max_f32_e32 v52, 0, v0
	s_and_b64 s[6:7], s[6:7], s[4:5]
	v_add_lshl_u32 v9, v8, v5, 2
	s_mov_b64 s[16:17], exec
.LBB1_45:                               ; =>This Inner Loop Header: Depth=1
	v_readfirstlane_b32 s12, v20
	v_readfirstlane_b32 s13, v21
	;; [unrolled: 1-line block ×4, first 2 shown]
	v_cmp_eq_u64_e64 s[8:9], s[12:13], v[20:21]
	v_cmp_eq_u64_e64 s[10:11], s[14:15], v[22:23]
	s_and_b64 s[8:9], s[8:9], s[10:11]
	s_and_saveexec_b64 s[8:9], s[8:9]
	s_nop 0
	buffer_load_dwordx4 v[0:3], v9, s[12:15], 0 offen
                                        ; implicit-def: $vgpr9
	s_xor_b64 exec, exec, s[8:9]
	s_cbranch_execnz .LBB1_45
; %bb.46:
	s_mov_b64 exec, s[16:17]
	s_waitcnt vmcnt(0)
	v_cndmask_b32_e64 v3, 0, v3, s[6:7]
	v_cndmask_b32_e64 v2, 0, v2, s[6:7]
	;; [unrolled: 1-line block ×4, first 2 shown]
	v_or_b32_e32 v75, 3, v92
	v_pk_add_f32 v[0:1], v[66:67], v[0:1]
	v_pk_add_f32 v[2:3], v[64:65], v[2:3]
	v_add_u32_e32 v8, v8, v4
	v_cmp_gt_i32_e64 s[6:7], v93, v75
	v_max_f32_e32 v67, 0, v3
	v_max_f32_e32 v66, 0, v2
	;; [unrolled: 1-line block ×4, first 2 shown]
	s_and_b64 s[8:9], s[6:7], vcc
	v_lshlrev_b32_e32 v9, 2, v8
	s_mov_b64 s[14:15], exec
.LBB1_47:                               ; =>This Inner Loop Header: Depth=1
	v_readfirstlane_b32 s16, v20
	v_readfirstlane_b32 s17, v21
	;; [unrolled: 1-line block ×4, first 2 shown]
	v_cmp_eq_u64_e64 s[10:11], s[16:17], v[20:21]
	v_cmp_eq_u64_e64 s[12:13], s[18:19], v[22:23]
	s_and_b64 s[10:11], s[10:11], s[12:13]
	s_and_saveexec_b64 s[10:11], s[10:11]
	s_nop 0
	buffer_load_dwordx4 v[0:3], v9, s[16:19], 0 offen
                                        ; implicit-def: $vgpr9
	s_xor_b64 exec, exec, s[10:11]
	s_cbranch_execnz .LBB1_47
; %bb.48:
	s_mov_b64 exec, s[14:15]
	s_waitcnt vmcnt(0)
	v_cndmask_b32_e64 v3, 0, v3, s[8:9]
	v_cndmask_b32_e64 v2, 0, v2, s[8:9]
	;; [unrolled: 1-line block ×4, first 2 shown]
	v_pk_add_f32 v[0:1], v[72:73], v[0:1]
	v_pk_add_f32 v[2:3], v[62:63], v[2:3]
	v_max_f32_e32 v35, 0, v3
	v_max_f32_e32 v34, 0, v2
	;; [unrolled: 1-line block ×4, first 2 shown]
	s_and_b64 s[6:7], s[6:7], s[4:5]
	v_add_lshl_u32 v9, v8, v5, 2
	s_mov_b64 s[16:17], exec
.LBB1_49:                               ; =>This Inner Loop Header: Depth=1
	v_readfirstlane_b32 s12, v20
	v_readfirstlane_b32 s13, v21
	;; [unrolled: 1-line block ×4, first 2 shown]
	v_cmp_eq_u64_e64 s[8:9], s[12:13], v[20:21]
	v_cmp_eq_u64_e64 s[10:11], s[14:15], v[22:23]
	s_and_b64 s[8:9], s[8:9], s[10:11]
	s_and_saveexec_b64 s[8:9], s[8:9]
	s_nop 0
	buffer_load_dwordx4 v[0:3], v9, s[12:15], 0 offen
                                        ; implicit-def: $vgpr9
	s_xor_b64 exec, exec, s[8:9]
	s_cbranch_execnz .LBB1_49
; %bb.50:
	s_mov_b64 exec, s[16:17]
	s_waitcnt vmcnt(0)
	v_cndmask_b32_e64 v3, 0, v3, s[6:7]
	v_cndmask_b32_e64 v2, 0, v2, s[6:7]
	;; [unrolled: 1-line block ×4, first 2 shown]
	v_add_u32_e32 v116, 64, v92
	v_mad_u64_u32 v[24:25], s[6:7], v4, 61, v[8:9]
	v_pk_add_f32 v[0:1], v[82:83], v[0:1]
	v_pk_add_f32 v[2:3], v[80:81], v[2:3]
	v_cmp_gt_i32_e64 s[6:7], v93, v116
	v_max_f32_e32 v83, 0, v3
	v_max_f32_e32 v82, 0, v2
	;; [unrolled: 1-line block ×4, first 2 shown]
	s_and_b64 s[8:9], s[6:7], vcc
	v_lshlrev_b32_e32 v8, 2, v24
	s_mov_b64 s[14:15], exec
.LBB1_51:                               ; =>This Inner Loop Header: Depth=1
	v_readfirstlane_b32 s16, v20
	v_readfirstlane_b32 s17, v21
	;; [unrolled: 1-line block ×4, first 2 shown]
	v_cmp_eq_u64_e64 s[10:11], s[16:17], v[20:21]
	v_cmp_eq_u64_e64 s[12:13], s[18:19], v[22:23]
	s_and_b64 s[10:11], s[10:11], s[12:13]
	s_and_saveexec_b64 s[10:11], s[10:11]
	s_nop 0
	buffer_load_dwordx4 v[0:3], v8, s[16:19], 0 offen
                                        ; implicit-def: $vgpr8
	s_xor_b64 exec, exec, s[10:11]
	s_cbranch_execnz .LBB1_51
; %bb.52:
	s_mov_b64 exec, s[14:15]
	s_waitcnt vmcnt(0)
	v_cndmask_b32_e64 v3, 0, v3, s[8:9]
	v_cndmask_b32_e64 v2, 0, v2, s[8:9]
	;; [unrolled: 1-line block ×4, first 2 shown]
	v_pk_add_f32 v[0:1], v[60:61], v[0:1]
	v_pk_add_f32 v[2:3], v[58:59], v[2:3]
	v_max_f32_e32 v3, 0, v3
	v_max_f32_e32 v2, 0, v2
	;; [unrolled: 1-line block ×4, first 2 shown]
	s_and_b64 s[6:7], s[6:7], s[4:5]
	v_add_lshl_u32 v12, v24, v5, 2
	s_mov_b64 s[16:17], exec
.LBB1_53:                               ; =>This Inner Loop Header: Depth=1
	v_readfirstlane_b32 s12, v20
	v_readfirstlane_b32 s13, v21
	v_readfirstlane_b32 s14, v22
	v_readfirstlane_b32 s15, v23
	v_cmp_eq_u64_e64 s[8:9], s[12:13], v[20:21]
	v_cmp_eq_u64_e64 s[10:11], s[14:15], v[22:23]
	s_and_b64 s[8:9], s[8:9], s[10:11]
	s_and_saveexec_b64 s[8:9], s[8:9]
	s_nop 0
	buffer_load_dwordx4 v[8:11], v12, s[12:15], 0 offen
                                        ; implicit-def: $vgpr12
	s_xor_b64 exec, exec, s[8:9]
	s_cbranch_execnz .LBB1_53
; %bb.54:
	s_mov_b64 exec, s[16:17]
	s_waitcnt vmcnt(0)
	v_cndmask_b32_e64 v11, 0, v11, s[6:7]
	v_cndmask_b32_e64 v10, 0, v10, s[6:7]
	;; [unrolled: 1-line block ×4, first 2 shown]
	v_pk_add_f32 v[8:9], v[56:57], v[8:9]
	v_pk_add_f32 v[10:11], v[46:47], v[10:11]
	v_add_u32_e32 v117, 0x41, v92
	v_max_f32_e32 v12, 0, v10
	v_max_f32_e32 v10, 0, v8
	v_add_u32_e32 v8, v24, v4
	v_cmp_gt_i32_e64 s[6:7], v93, v117
	v_max_f32_e32 v13, 0, v11
	v_max_f32_e32 v11, 0, v9
	s_and_b64 s[8:9], s[6:7], vcc
	v_lshlrev_b32_e32 v9, 2, v8
	s_mov_b64 s[14:15], exec
.LBB1_55:                               ; =>This Inner Loop Header: Depth=1
	v_readfirstlane_b32 s16, v20
	v_readfirstlane_b32 s17, v21
	;; [unrolled: 1-line block ×4, first 2 shown]
	v_cmp_eq_u64_e64 s[10:11], s[16:17], v[20:21]
	v_cmp_eq_u64_e64 s[12:13], s[18:19], v[22:23]
	s_and_b64 s[10:11], s[10:11], s[12:13]
	s_and_saveexec_b64 s[10:11], s[10:11]
	s_nop 0
	buffer_load_dwordx4 v[24:27], v9, s[16:19], 0 offen
                                        ; implicit-def: $vgpr9
	s_xor_b64 exec, exec, s[10:11]
	s_cbranch_execnz .LBB1_55
; %bb.56:
	s_mov_b64 exec, s[14:15]
	s_waitcnt vmcnt(0)
	v_cndmask_b32_e64 v27, 0, v27, s[8:9]
	v_cndmask_b32_e64 v26, 0, v26, s[8:9]
	;; [unrolled: 1-line block ×4, first 2 shown]
	v_pk_add_f32 v[24:25], v[44:45], v[24:25]
	v_pk_add_f32 v[26:27], v[42:43], v[26:27]
	v_max_f32_e32 v27, 0, v27
	v_max_f32_e32 v26, 0, v26
	;; [unrolled: 1-line block ×4, first 2 shown]
	s_and_b64 s[6:7], s[6:7], s[4:5]
	v_add_lshl_u32 v9, v8, v5, 2
	s_mov_b64 s[16:17], exec
.LBB1_57:                               ; =>This Inner Loop Header: Depth=1
	v_readfirstlane_b32 s12, v20
	v_readfirstlane_b32 s13, v21
	;; [unrolled: 1-line block ×4, first 2 shown]
	v_cmp_eq_u64_e64 s[8:9], s[12:13], v[20:21]
	v_cmp_eq_u64_e64 s[10:11], s[14:15], v[22:23]
	s_and_b64 s[8:9], s[8:9], s[10:11]
	s_and_saveexec_b64 s[8:9], s[8:9]
	s_nop 0
	buffer_load_dwordx4 v[28:31], v9, s[12:15], 0 offen
                                        ; implicit-def: $vgpr9
	s_xor_b64 exec, exec, s[8:9]
	s_cbranch_execnz .LBB1_57
; %bb.58:
	s_mov_b64 exec, s[16:17]
	s_waitcnt vmcnt(0)
	v_cndmask_b32_e64 v31, 0, v31, s[6:7]
	v_cndmask_b32_e64 v30, 0, v30, s[6:7]
	;; [unrolled: 1-line block ×4, first 2 shown]
	v_add_u32_e32 v42, 0x42, v92
	v_pk_add_f32 v[28:29], v[86:87], v[28:29]
	v_pk_add_f32 v[30:31], v[84:85], v[30:31]
	v_add_u32_e32 v8, v8, v4
	v_cmp_gt_i32_e64 s[6:7], v93, v42
	v_max_f32_e32 v31, 0, v31
	v_max_f32_e32 v30, 0, v30
	;; [unrolled: 1-line block ×4, first 2 shown]
	s_and_b64 s[8:9], s[6:7], vcc
	v_lshlrev_b32_e32 v9, 2, v8
	s_mov_b64 s[14:15], exec
.LBB1_59:                               ; =>This Inner Loop Header: Depth=1
	v_readfirstlane_b32 s16, v20
	v_readfirstlane_b32 s17, v21
	;; [unrolled: 1-line block ×4, first 2 shown]
	v_cmp_eq_u64_e64 s[10:11], s[16:17], v[20:21]
	v_cmp_eq_u64_e64 s[12:13], s[18:19], v[22:23]
	s_and_b64 s[10:11], s[10:11], s[12:13]
	s_and_saveexec_b64 s[10:11], s[10:11]
	s_nop 0
	buffer_load_dwordx4 v[84:87], v9, s[16:19], 0 offen
                                        ; implicit-def: $vgpr9
	s_xor_b64 exec, exec, s[10:11]
	s_cbranch_execnz .LBB1_59
; %bb.60:
	s_mov_b64 exec, s[14:15]
	s_waitcnt vmcnt(0)
	v_cndmask_b32_e64 v87, 0, v87, s[8:9]
	v_cndmask_b32_e64 v86, 0, v86, s[8:9]
	;; [unrolled: 1-line block ×4, first 2 shown]
	v_pk_add_f32 v[84:85], v[98:99], v[84:85]
	v_pk_add_f32 v[86:87], v[96:97], v[86:87]
	v_max_f32_e32 v87, 0, v87
	v_max_f32_e32 v86, 0, v86
	;; [unrolled: 1-line block ×4, first 2 shown]
	s_and_b64 s[6:7], s[6:7], s[4:5]
	v_add_lshl_u32 v9, v8, v5, 2
	s_mov_b64 s[16:17], exec
.LBB1_61:                               ; =>This Inner Loop Header: Depth=1
	v_readfirstlane_b32 s12, v20
	v_readfirstlane_b32 s13, v21
	v_readfirstlane_b32 s14, v22
	v_readfirstlane_b32 s15, v23
	v_cmp_eq_u64_e64 s[8:9], s[12:13], v[20:21]
	v_cmp_eq_u64_e64 s[10:11], s[14:15], v[22:23]
	s_and_b64 s[8:9], s[8:9], s[10:11]
	s_and_saveexec_b64 s[8:9], s[8:9]
	s_nop 0
	buffer_load_dwordx4 v[96:99], v9, s[12:15], 0 offen
                                        ; implicit-def: $vgpr9
	s_xor_b64 exec, exec, s[8:9]
	s_cbranch_execnz .LBB1_61
; %bb.62:
	s_mov_b64 exec, s[16:17]
	s_waitcnt vmcnt(0)
	v_cndmask_b32_e64 v99, 0, v99, s[6:7]
	v_cndmask_b32_e64 v98, 0, v98, s[6:7]
	;; [unrolled: 1-line block ×4, first 2 shown]
	v_add_u32_e32 v43, 0x43, v92
	v_pk_add_f32 v[96:97], v[102:103], v[96:97]
	v_pk_add_f32 v[98:99], v[100:101], v[98:99]
	v_add_u32_e32 v4, v8, v4
	v_cmp_gt_i32_e64 s[6:7], v93, v43
	v_max_f32_e32 v99, 0, v99
	v_max_f32_e32 v98, 0, v98
	;; [unrolled: 1-line block ×4, first 2 shown]
	s_and_b64 vcc, s[6:7], vcc
	v_lshlrev_b32_e32 v8, 2, v4
	s_mov_b64 s[16:17], exec
.LBB1_63:                               ; =>This Inner Loop Header: Depth=1
	v_readfirstlane_b32 s12, v20
	v_readfirstlane_b32 s13, v21
	;; [unrolled: 1-line block ×4, first 2 shown]
	v_cmp_eq_u64_e64 s[8:9], s[12:13], v[20:21]
	v_cmp_eq_u64_e64 s[10:11], s[14:15], v[22:23]
	s_and_b64 s[8:9], s[8:9], s[10:11]
	s_and_saveexec_b64 s[8:9], s[8:9]
	s_nop 0
	buffer_load_dwordx4 v[100:103], v8, s[12:15], 0 offen
                                        ; implicit-def: $vgpr8
	s_xor_b64 exec, exec, s[8:9]
	s_cbranch_execnz .LBB1_63
; %bb.64:
	s_mov_b64 exec, s[16:17]
	s_waitcnt vmcnt(0)
	v_cndmask_b32_e32 v9, 0, v103, vcc
	v_cndmask_b32_e32 v8, 0, v102, vcc
	;; [unrolled: 1-line block ×4, first 2 shown]
	v_pk_add_f32 v[100:101], v[114:115], v[100:101]
	v_pk_add_f32 v[8:9], v[112:113], v[8:9]
	v_max_f32_e32 v103, 0, v9
	v_max_f32_e32 v102, 0, v8
	;; [unrolled: 1-line block ×4, first 2 shown]
	s_and_b64 vcc, s[6:7], s[4:5]
	v_add_lshl_u32 v4, v4, v5, 2
	s_mov_b64 s[12:13], exec
.LBB1_65:                               ; =>This Inner Loop Header: Depth=1
	v_readfirstlane_b32 s8, v20
	v_readfirstlane_b32 s9, v21
	;; [unrolled: 1-line block ×4, first 2 shown]
	v_cmp_eq_u64_e64 s[4:5], s[8:9], v[20:21]
	v_cmp_eq_u64_e64 s[6:7], s[10:11], v[22:23]
	s_and_b64 s[4:5], s[4:5], s[6:7]
	s_and_saveexec_b64 s[4:5], s[4:5]
	s_nop 0
	buffer_load_dwordx4 v[112:115], v4, s[8:11], 0 offen
                                        ; implicit-def: $vgpr20_vgpr21_vgpr22_vgpr23
                                        ; implicit-def: $vgpr4
	s_xor_b64 exec, exec, s[4:5]
	s_cbranch_execnz .LBB1_65
; %bb.66:
	s_mov_b64 exec, s[12:13]
	v_accvgpr_read_b32 v9, a1
	v_accvgpr_read_b32 v8, a0
	flat_load_dwordx2 v[4:5], v[8:9] offset:8
	flat_load_dword v44, v[8:9] offset:32
	flat_load_dword v45, v[8:9] offset:20
	s_waitcnt vmcnt(0)
	v_cndmask_b32_e32 v21, 0, v115, vcc
	v_cndmask_b32_e32 v20, 0, v114, vcc
	v_cndmask_b32_e32 v23, 0, v113, vcc
	v_cndmask_b32_e32 v22, 0, v112, vcc
	v_bfrev_b32_e32 v114, 1
	v_accvgpr_read_b32 v8, a2
	v_pk_add_f32 v[112:113], v[118:119], v[22:23]
	v_pk_add_f32 v[20:21], v[40:41], v[20:21]
	v_lshlrev_b32_e32 v8, 2, v8
	v_mov_b32_e32 v9, 0x20000
	v_max_f32_e32 v23, 0, v21
	v_max_f32_e32 v22, 0, v20
	;; [unrolled: 1-line block ×4, first 2 shown]
	s_waitcnt lgkmcnt(0)
	v_mul_lo_u32 v4, v4, v92
	v_cmp_gt_i32_e32 vcc, v44, v14
	v_cmp_gt_i32_e64 s[4:5], v45, v92
	v_mad_u64_u32 v[4:5], s[6:7], v5, v14, v[4:5]
	s_and_b64 s[4:5], s[4:5], vcc
	v_cndmask_b32_e64 v5, v114, 0, s[4:5]
	v_lshl_add_u32 v5, v4, 2, v5
	s_mov_b64 s[6:7], exec
.LBB1_67:                               ; =>This Inner Loop Header: Depth=1
	v_readfirstlane_b32 s8, v6
	v_readfirstlane_b32 s9, v7
	;; [unrolled: 1-line block ×4, first 2 shown]
	v_cmp_eq_u64_e32 vcc, s[8:9], v[6:7]
	v_cmp_eq_u64_e64 s[4:5], s[10:11], v[8:9]
	s_and_b64 s[4:5], vcc, s[4:5]
	s_and_saveexec_b64 s[4:5], s[4:5]
	s_nop 0
	buffer_store_dwordx4 v[36:39], v5, s[8:11], 0 offen
                                        ; implicit-def: $vgpr36_vgpr37_vgpr38_vgpr39
                                        ; implicit-def: $vgpr5
	s_xor_b64 exec, exec, s[4:5]
	s_cbranch_execnz .LBB1_67
; %bb.68:
	s_mov_b64 exec, s[6:7]
	v_accvgpr_read_b32 v39, a1
	v_accvgpr_read_b32 v38, a0
	flat_load_dword v5, v[38:39] offset:12
	flat_load_dword v36, v[38:39] offset:32
	;; [unrolled: 1-line block ×3, first 2 shown]
	v_bfrev_b32_e32 v38, 1
	s_mov_b64 s[6:7], exec
	s_waitcnt vmcnt(0) lgkmcnt(0)
	v_lshl_add_u32 v4, v5, 6, v4
	v_cmp_gt_i32_e32 vcc, v36, v15
	v_cmp_gt_i32_e64 s[4:5], v37, v92
	s_and_b64 s[4:5], s[4:5], vcc
	v_cndmask_b32_e64 v5, v38, 0, s[4:5]
	v_lshl_add_u32 v5, v4, 2, v5
.LBB1_69:                               ; =>This Inner Loop Header: Depth=1
	v_readfirstlane_b32 s8, v6
	v_readfirstlane_b32 s9, v7
	;; [unrolled: 1-line block ×4, first 2 shown]
	v_cmp_eq_u64_e32 vcc, s[8:9], v[6:7]
	v_cmp_eq_u64_e64 s[4:5], s[10:11], v[8:9]
	s_and_b64 s[4:5], vcc, s[4:5]
	s_and_saveexec_b64 s[4:5], s[4:5]
	s_nop 0
	buffer_store_dwordx4 v[48:51], v5, s[8:11], 0 offen
                                        ; implicit-def: $vgpr48_vgpr49_vgpr50_vgpr51
                                        ; implicit-def: $vgpr5
	s_xor_b64 exec, exec, s[4:5]
	s_cbranch_execnz .LBB1_69
; %bb.70:
	s_mov_b64 exec, s[6:7]
	v_accvgpr_read_b32 v49, a1
	v_accvgpr_read_b32 v48, a0
	flat_load_dword v5, v[48:49] offset:8
	flat_load_dword v36, v[48:49] offset:32
	;; [unrolled: 1-line block ×3, first 2 shown]
	v_bfrev_b32_e32 v38, 1
	s_mov_b64 s[6:7], exec
	s_waitcnt vmcnt(0) lgkmcnt(0)
	v_add_u32_e32 v4, v5, v4
	v_cmp_gt_i32_e32 vcc, v36, v15
	v_cmp_gt_i32_e64 s[4:5], v37, v78
	s_and_b64 s[4:5], s[4:5], vcc
	v_cndmask_b32_e64 v5, v38, 0, s[4:5]
	v_lshl_add_u32 v5, v4, 2, v5
.LBB1_71:                               ; =>This Inner Loop Header: Depth=1
	v_readfirstlane_b32 s8, v6
	v_readfirstlane_b32 s9, v7
	;; [unrolled: 1-line block ×4, first 2 shown]
	v_cmp_eq_u64_e32 vcc, s[8:9], v[6:7]
	v_cmp_eq_u64_e64 s[4:5], s[10:11], v[8:9]
	s_and_b64 s[4:5], vcc, s[4:5]
	s_and_saveexec_b64 s[4:5], s[4:5]
	s_nop 0
	buffer_store_dwordx4 v[68:71], v5, s[8:11], 0 offen
                                        ; implicit-def: $vgpr68_vgpr69_vgpr70_vgpr71
                                        ; implicit-def: $vgpr5
	s_xor_b64 exec, exec, s[4:5]
	s_cbranch_execnz .LBB1_71
; %bb.72:
	s_mov_b64 exec, s[6:7]
	flat_load_dword v5, v[48:49] offset:12
	flat_load_dword v36, v[48:49] offset:32
	;; [unrolled: 1-line block ×3, first 2 shown]
	v_bfrev_b32_e32 v38, 1
	s_mov_b64 s[6:7], exec
	s_waitcnt vmcnt(0) lgkmcnt(0)
	v_lshlrev_b32_e32 v5, 6, v5
	v_cmp_gt_i32_e32 vcc, v36, v14
	v_cmp_gt_i32_e64 s[4:5], v37, v78
	s_and_b64 s[4:5], s[4:5], vcc
	v_sub_u32_e32 v4, v4, v5
	v_cndmask_b32_e64 v5, v38, 0, s[4:5]
	v_lshl_add_u32 v5, v4, 2, v5
.LBB1_73:                               ; =>This Inner Loop Header: Depth=1
	v_readfirstlane_b32 s8, v6
	v_readfirstlane_b32 s9, v7
	;; [unrolled: 1-line block ×4, first 2 shown]
	v_cmp_eq_u64_e32 vcc, s[8:9], v[6:7]
	v_cmp_eq_u64_e64 s[4:5], s[10:11], v[8:9]
	s_and_b64 s[4:5], vcc, s[4:5]
	s_and_saveexec_b64 s[4:5], s[4:5]
	s_nop 0
	buffer_store_dwordx4 v[16:19], v5, s[8:11], 0 offen
                                        ; implicit-def: $vgpr16_vgpr17_vgpr18_vgpr19
                                        ; implicit-def: $vgpr5
	s_xor_b64 exec, exec, s[4:5]
	s_cbranch_execnz .LBB1_73
; %bb.74:
	s_mov_b64 exec, s[6:7]
	flat_load_dword v5, v[48:49] offset:8
	flat_load_dword v16, v[48:49] offset:32
	;; [unrolled: 1-line block ×3, first 2 shown]
	v_bfrev_b32_e32 v18, 1
	s_mov_b64 s[6:7], exec
	s_waitcnt vmcnt(0) lgkmcnt(0)
	v_add_u32_e32 v4, v5, v4
	v_cmp_gt_i32_e32 vcc, v16, v14
	v_cmp_gt_i32_e64 s[4:5], v17, v74
	s_and_b64 s[4:5], s[4:5], vcc
	v_cndmask_b32_e64 v5, v18, 0, s[4:5]
	v_lshl_add_u32 v5, v4, 2, v5
.LBB1_75:                               ; =>This Inner Loop Header: Depth=1
	v_readfirstlane_b32 s8, v6
	v_readfirstlane_b32 s9, v7
	v_readfirstlane_b32 s10, v8
	v_readfirstlane_b32 s11, v9
	v_cmp_eq_u64_e32 vcc, s[8:9], v[6:7]
	v_cmp_eq_u64_e64 s[4:5], s[10:11], v[8:9]
	s_and_b64 s[4:5], vcc, s[4:5]
	s_and_saveexec_b64 s[4:5], s[4:5]
	s_nop 0
	buffer_store_dwordx4 v[52:55], v5, s[8:11], 0 offen
                                        ; implicit-def: $vgpr52_vgpr53_vgpr54_vgpr55
                                        ; implicit-def: $vgpr5
	s_xor_b64 exec, exec, s[4:5]
	s_cbranch_execnz .LBB1_75
; %bb.76:
	s_mov_b64 exec, s[6:7]
	flat_load_dword v5, v[48:49] offset:12
	flat_load_dword v16, v[48:49] offset:32
	;; [unrolled: 1-line block ×3, first 2 shown]
	v_bfrev_b32_e32 v18, 1
	s_mov_b64 s[6:7], exec
	s_waitcnt vmcnt(0) lgkmcnt(0)
	v_lshl_add_u32 v4, v5, 6, v4
	v_cmp_gt_i32_e32 vcc, v16, v15
	v_cmp_gt_i32_e64 s[4:5], v17, v74
	s_and_b64 s[4:5], s[4:5], vcc
	v_cndmask_b32_e64 v5, v18, 0, s[4:5]
	v_lshl_add_u32 v5, v4, 2, v5
.LBB1_77:                               ; =>This Inner Loop Header: Depth=1
	v_readfirstlane_b32 s8, v6
	v_readfirstlane_b32 s9, v7
	;; [unrolled: 1-line block ×4, first 2 shown]
	v_cmp_eq_u64_e32 vcc, s[8:9], v[6:7]
	v_cmp_eq_u64_e64 s[4:5], s[10:11], v[8:9]
	s_and_b64 s[4:5], vcc, s[4:5]
	s_and_saveexec_b64 s[4:5], s[4:5]
	s_nop 0
	buffer_store_dwordx4 v[64:67], v5, s[8:11], 0 offen
                                        ; implicit-def: $vgpr64_vgpr65_vgpr66_vgpr67
                                        ; implicit-def: $vgpr5
	s_xor_b64 exec, exec, s[4:5]
	s_cbranch_execnz .LBB1_77
; %bb.78:
	s_mov_b64 exec, s[6:7]
	flat_load_dword v5, v[48:49] offset:8
	flat_load_dword v16, v[48:49] offset:32
	;; [unrolled: 1-line block ×3, first 2 shown]
	v_bfrev_b32_e32 v18, 1
	s_mov_b64 s[6:7], exec
	s_waitcnt vmcnt(0) lgkmcnt(0)
	v_add_u32_e32 v4, v5, v4
	v_cmp_gt_i32_e32 vcc, v16, v15
	v_cmp_gt_i32_e64 s[4:5], v17, v75
	s_and_b64 s[4:5], s[4:5], vcc
	v_cndmask_b32_e64 v5, v18, 0, s[4:5]
	v_lshl_add_u32 v5, v4, 2, v5
.LBB1_79:                               ; =>This Inner Loop Header: Depth=1
	v_readfirstlane_b32 s8, v6
	v_readfirstlane_b32 s9, v7
	v_readfirstlane_b32 s10, v8
	v_readfirstlane_b32 s11, v9
	v_cmp_eq_u64_e32 vcc, s[8:9], v[6:7]
	v_cmp_eq_u64_e64 s[4:5], s[10:11], v[8:9]
	s_and_b64 s[4:5], vcc, s[4:5]
	s_and_saveexec_b64 s[4:5], s[4:5]
	s_nop 0
	buffer_store_dwordx4 v[80:83], v5, s[8:11], 0 offen
                                        ; implicit-def: $vgpr80_vgpr81_vgpr82_vgpr83
                                        ; implicit-def: $vgpr5
	s_xor_b64 exec, exec, s[4:5]
	s_cbranch_execnz .LBB1_79
; %bb.80:
	s_mov_b64 exec, s[6:7]
	flat_load_dword v5, v[48:49] offset:12
	flat_load_dword v16, v[48:49] offset:32
	;; [unrolled: 1-line block ×3, first 2 shown]
	v_bfrev_b32_e32 v18, 1
	s_mov_b64 s[6:7], exec
	s_waitcnt vmcnt(0) lgkmcnt(0)
	v_lshlrev_b32_e32 v5, 6, v5
	v_cmp_gt_i32_e32 vcc, v16, v14
	v_cmp_gt_i32_e64 s[4:5], v17, v75
	v_sub_u32_e32 v4, v4, v5
	s_and_b64 s[4:5], s[4:5], vcc
	v_cndmask_b32_e64 v5, v18, 0, s[4:5]
	v_lshlrev_b32_e32 v16, 2, v4
	v_add_u32_e32 v5, v5, v16
.LBB1_81:                               ; =>This Inner Loop Header: Depth=1
	v_readfirstlane_b32 s8, v6
	v_readfirstlane_b32 s9, v7
	;; [unrolled: 1-line block ×4, first 2 shown]
	v_cmp_eq_u64_e32 vcc, s[8:9], v[6:7]
	v_cmp_eq_u64_e64 s[4:5], s[10:11], v[8:9]
	s_and_b64 s[4:5], vcc, s[4:5]
	s_and_saveexec_b64 s[4:5], s[4:5]
	s_nop 0
	buffer_store_dwordx4 v[32:35], v5, s[8:11], 0 offen
                                        ; implicit-def: $vgpr32_vgpr33_vgpr34_vgpr35
                                        ; implicit-def: $vgpr5
	s_xor_b64 exec, exec, s[4:5]
	s_cbranch_execnz .LBB1_81
; %bb.82:
	s_mov_b64 exec, s[6:7]
	flat_load_dword v17, v[48:49] offset:32
	flat_load_dword v18, v[48:49] offset:20
	;; [unrolled: 1-line block ×3, first 2 shown]
	v_bfrev_b32_e32 v19, 1
	s_mov_b64 s[6:7], exec
	s_waitcnt vmcnt(0) lgkmcnt(0)
	v_cmp_gt_i32_e32 vcc, v17, v14
	v_cmp_gt_i32_e64 s[4:5], v18, v43
	s_and_b64 s[4:5], s[4:5], vcc
	v_lshlrev_b32_e32 v17, 8, v5
	v_cndmask_b32_e64 v18, v19, 0, s[4:5]
	v_add3_u32 v16, v17, v16, v18
.LBB1_83:                               ; =>This Inner Loop Header: Depth=1
	v_readfirstlane_b32 s8, v6
	v_readfirstlane_b32 s9, v7
	;; [unrolled: 1-line block ×4, first 2 shown]
	v_cmp_eq_u64_e32 vcc, s[8:9], v[6:7]
	v_cmp_eq_u64_e64 s[4:5], s[10:11], v[8:9]
	s_and_b64 s[4:5], vcc, s[4:5]
	s_and_saveexec_b64 s[4:5], s[4:5]
	s_nop 0
	buffer_store_dwordx4 v[100:103], v16, s[8:11], 0 offen
                                        ; implicit-def: $vgpr100_vgpr101_vgpr102_vgpr103
                                        ; implicit-def: $vgpr16
	s_xor_b64 exec, exec, s[4:5]
	s_cbranch_execnz .LBB1_83
; %bb.84:
	s_mov_b64 exec, s[6:7]
	flat_load_dword v16, v[48:49] offset:12
	flat_load_dword v17, v[48:49] offset:32
	;; [unrolled: 1-line block ×3, first 2 shown]
	v_bfrev_b32_e32 v19, 1
	s_mov_b64 s[6:7], exec
	s_waitcnt vmcnt(0) lgkmcnt(0)
	v_add_u32_e32 v5, v16, v5
	v_cmp_gt_i32_e32 vcc, v17, v15
	v_cmp_gt_i32_e64 s[4:5], v18, v43
	s_and_b64 s[4:5], s[4:5], vcc
	v_lshl_add_u32 v4, v5, 6, v4
	v_cndmask_b32_e64 v5, v19, 0, s[4:5]
	v_lshl_add_u32 v5, v4, 2, v5
.LBB1_85:                               ; =>This Inner Loop Header: Depth=1
	v_readfirstlane_b32 s8, v6
	v_readfirstlane_b32 s9, v7
	;; [unrolled: 1-line block ×4, first 2 shown]
	v_cmp_eq_u64_e32 vcc, s[8:9], v[6:7]
	v_cmp_eq_u64_e64 s[4:5], s[10:11], v[8:9]
	s_and_b64 s[4:5], vcc, s[4:5]
	s_and_saveexec_b64 s[4:5], s[4:5]
	s_nop 0
	buffer_store_dwordx4 v[20:23], v5, s[8:11], 0 offen
                                        ; implicit-def: $vgpr20_vgpr21_vgpr22_vgpr23
                                        ; implicit-def: $vgpr5
	s_xor_b64 exec, exec, s[4:5]
	s_cbranch_execnz .LBB1_85
; %bb.86:
	s_mov_b64 exec, s[6:7]
	flat_load_dword v5, v[48:49] offset:8
	flat_load_dword v16, v[48:49] offset:32
	;; [unrolled: 1-line block ×3, first 2 shown]
	v_bfrev_b32_e32 v18, 1
	s_mov_b64 s[6:7], exec
	s_waitcnt vmcnt(0) lgkmcnt(0)
	v_sub_u32_e32 v4, v4, v5
	v_cmp_gt_i32_e32 vcc, v16, v15
	v_cmp_ge_i32_e64 s[4:5], v17, v43
	s_and_b64 s[4:5], s[4:5], vcc
	v_cndmask_b32_e64 v5, v18, 0, s[4:5]
	v_lshl_add_u32 v5, v4, 2, v5
.LBB1_87:                               ; =>This Inner Loop Header: Depth=1
	v_readfirstlane_b32 s8, v6
	v_readfirstlane_b32 s9, v7
	;; [unrolled: 1-line block ×4, first 2 shown]
	v_cmp_eq_u64_e32 vcc, s[8:9], v[6:7]
	v_cmp_eq_u64_e64 s[4:5], s[10:11], v[8:9]
	s_and_b64 s[4:5], vcc, s[4:5]
	s_and_saveexec_b64 s[4:5], s[4:5]
	s_nop 0
	buffer_store_dwordx4 v[96:99], v5, s[8:11], 0 offen
                                        ; implicit-def: $vgpr96_vgpr97_vgpr98_vgpr99
                                        ; implicit-def: $vgpr5
	s_xor_b64 exec, exec, s[4:5]
	s_cbranch_execnz .LBB1_87
; %bb.88:
	s_mov_b64 exec, s[6:7]
	flat_load_dword v5, v[48:49] offset:12
	flat_load_dword v16, v[48:49] offset:32
	;; [unrolled: 1-line block ×3, first 2 shown]
	v_bfrev_b32_e32 v18, 1
	s_mov_b64 s[6:7], exec
	s_waitcnt vmcnt(0) lgkmcnt(0)
	v_lshlrev_b32_e32 v5, 6, v5
	v_cmp_gt_i32_e32 vcc, v16, v14
	v_cmp_gt_i32_e64 s[4:5], v17, v42
	s_and_b64 s[4:5], s[4:5], vcc
	v_sub_u32_e32 v4, v4, v5
	v_cndmask_b32_e64 v5, v18, 0, s[4:5]
	v_lshl_add_u32 v5, v4, 2, v5
.LBB1_89:                               ; =>This Inner Loop Header: Depth=1
	v_readfirstlane_b32 s8, v6
	v_readfirstlane_b32 s9, v7
	;; [unrolled: 1-line block ×4, first 2 shown]
	v_cmp_eq_u64_e32 vcc, s[8:9], v[6:7]
	v_cmp_eq_u64_e64 s[4:5], s[10:11], v[8:9]
	s_and_b64 s[4:5], vcc, s[4:5]
	s_and_saveexec_b64 s[4:5], s[4:5]
	s_nop 0
	buffer_store_dwordx4 v[84:87], v5, s[8:11], 0 offen
                                        ; implicit-def: $vgpr84_vgpr85_vgpr86_vgpr87
                                        ; implicit-def: $vgpr5
	s_xor_b64 exec, exec, s[4:5]
	s_cbranch_execnz .LBB1_89
; %bb.90:
	s_mov_b64 exec, s[6:7]
	flat_load_dword v5, v[48:49] offset:8
	flat_load_dword v16, v[48:49] offset:32
	;; [unrolled: 1-line block ×3, first 2 shown]
	v_bfrev_b32_e32 v18, 1
	s_mov_b64 s[6:7], exec
	s_waitcnt vmcnt(0) lgkmcnt(0)
	v_sub_u32_e32 v4, v4, v5
	v_cmp_gt_i32_e32 vcc, v16, v14
	v_cmp_ge_i32_e64 s[4:5], v17, v42
	s_and_b64 s[4:5], s[4:5], vcc
	v_cndmask_b32_e64 v5, v18, 0, s[4:5]
	v_lshl_add_u32 v5, v4, 2, v5
.LBB1_91:                               ; =>This Inner Loop Header: Depth=1
	v_readfirstlane_b32 s8, v6
	v_readfirstlane_b32 s9, v7
	;; [unrolled: 1-line block ×4, first 2 shown]
	v_cmp_eq_u64_e32 vcc, s[8:9], v[6:7]
	v_cmp_eq_u64_e64 s[4:5], s[10:11], v[8:9]
	s_and_b64 s[4:5], vcc, s[4:5]
	s_and_saveexec_b64 s[4:5], s[4:5]
	s_nop 0
	buffer_store_dwordx4 v[24:27], v5, s[8:11], 0 offen
                                        ; implicit-def: $vgpr24_vgpr25_vgpr26_vgpr27
                                        ; implicit-def: $vgpr5
	s_xor_b64 exec, exec, s[4:5]
	s_cbranch_execnz .LBB1_91
; %bb.92:
	s_mov_b64 exec, s[6:7]
	flat_load_dword v5, v[48:49] offset:12
	flat_load_dword v16, v[48:49] offset:32
	;; [unrolled: 1-line block ×3, first 2 shown]
	v_bfrev_b32_e32 v18, 1
	s_mov_b64 s[6:7], exec
	s_waitcnt vmcnt(0) lgkmcnt(0)
	v_lshl_add_u32 v4, v5, 6, v4
	v_cmp_gt_i32_e32 vcc, v16, v15
	v_cmp_gt_i32_e64 s[4:5], v17, v117
	s_and_b64 s[4:5], s[4:5], vcc
	v_cndmask_b32_e64 v5, v18, 0, s[4:5]
	v_lshl_add_u32 v5, v4, 2, v5
.LBB1_93:                               ; =>This Inner Loop Header: Depth=1
	v_readfirstlane_b32 s8, v6
	v_readfirstlane_b32 s9, v7
	;; [unrolled: 1-line block ×4, first 2 shown]
	v_cmp_eq_u64_e32 vcc, s[8:9], v[6:7]
	v_cmp_eq_u64_e64 s[4:5], s[10:11], v[8:9]
	s_and_b64 s[4:5], vcc, s[4:5]
	s_and_saveexec_b64 s[4:5], s[4:5]
	s_nop 0
	buffer_store_dwordx4 v[28:31], v5, s[8:11], 0 offen
                                        ; implicit-def: $vgpr28_vgpr29_vgpr30_vgpr31
                                        ; implicit-def: $vgpr5
	s_xor_b64 exec, exec, s[4:5]
	s_cbranch_execnz .LBB1_93
; %bb.94:
	s_mov_b64 exec, s[6:7]
	flat_load_dword v5, v[48:49] offset:8
	flat_load_dword v16, v[48:49] offset:32
	flat_load_dword v17, v[48:49] offset:20
	v_bfrev_b32_e32 v18, 1
	s_mov_b64 s[6:7], exec
	s_waitcnt vmcnt(0) lgkmcnt(0)
	v_sub_u32_e32 v4, v4, v5
	v_cmp_gt_i32_e32 vcc, v16, v15
	v_cmp_ge_i32_e64 s[4:5], v17, v117
	s_and_b64 s[4:5], s[4:5], vcc
	v_lshlrev_b32_e32 v4, 2, v4
	v_cndmask_b32_e64 v5, v18, 0, s[4:5]
	v_add_u32_e32 v5, v5, v4
.LBB1_95:                               ; =>This Inner Loop Header: Depth=1
	v_readfirstlane_b32 s8, v6
	v_readfirstlane_b32 s9, v7
	;; [unrolled: 1-line block ×4, first 2 shown]
	v_cmp_eq_u64_e32 vcc, s[8:9], v[6:7]
	v_cmp_eq_u64_e64 s[4:5], s[10:11], v[8:9]
	s_and_b64 s[4:5], vcc, s[4:5]
	s_and_saveexec_b64 s[4:5], s[4:5]
	s_nop 0
	buffer_store_dwordx4 v[10:13], v5, s[8:11], 0 offen
                                        ; implicit-def: $vgpr10_vgpr11_vgpr12_vgpr13
                                        ; implicit-def: $vgpr5
	s_xor_b64 exec, exec, s[4:5]
	s_cbranch_execnz .LBB1_95
; %bb.96:
	s_mov_b64 exec, s[6:7]
	flat_load_dword v5, v[48:49] offset:32
	flat_load_dword v10, v[48:49] offset:20
	;; [unrolled: 1-line block ×3, first 2 shown]
	v_bfrev_b32_e32 v12, 1
	s_mov_b64 s[6:7], exec
	s_waitcnt vmcnt(0) lgkmcnt(0)
	v_cmp_gt_i32_e32 vcc, v5, v14
	v_cmp_gt_i32_e64 s[4:5], v10, v116
	v_lshlrev_b32_e32 v5, 8, v11
	s_and_b64 s[4:5], s[4:5], vcc
	v_sub_u32_e32 v4, v4, v5
	v_cndmask_b32_e64 v5, v12, 0, s[4:5]
	v_add_u32_e32 v4, v4, v5
.LBB1_97:                               ; =>This Inner Loop Header: Depth=1
	v_readfirstlane_b32 s8, v6
	v_readfirstlane_b32 s9, v7
	;; [unrolled: 1-line block ×4, first 2 shown]
	v_cmp_eq_u64_e32 vcc, s[8:9], v[6:7]
	v_cmp_eq_u64_e64 s[4:5], s[10:11], v[8:9]
	s_and_b64 s[4:5], vcc, s[4:5]
	s_and_saveexec_b64 s[4:5], s[4:5]
	s_nop 0
	buffer_store_dwordx4 v[0:3], v4, s[8:11], 0 offen
                                        ; implicit-def: $vgpr6_vgpr7_vgpr8_vgpr9
                                        ; implicit-def: $vgpr0_vgpr1_vgpr2_vgpr3
                                        ; implicit-def: $vgpr4
	s_xor_b64 exec, exec, s[4:5]
	s_cbranch_execnz .LBB1_97
; %bb.98:
	s_mov_b64 exec, s[6:7]
	s_waitcnt vmcnt(0)
	s_setpc_b64 s[30:31]
.Lfunc_end1:
	.size	_ZN2ck32GridwiseGemmDlMultipleD_km_kn_mnILi256EffNS_5TupleIJfEEEfNS_16tensor_operation12element_wise11PassThroughES5_NS4_7AddReluELNS_25InMemoryDataOperationEnumE0ENS_16TensorDescriptorINS1_IJNS_5EmbedINS1_IJiiiEEESA_Lb0EEENS_11PassThroughIiEENS_3PadIiiiLb0EEESD_SD_NS9_INS1_IJiiEEESG_Lb0EEESD_NS_23Merge_v2_magic_divisionISG_EESJ_NS_8RightPadIiiLb0EEESL_NS_7UnMergeISG_Lb0EEESD_EEENS1_IJNS_8SequenceIJLi0EEEENSP_IJLi1EEEENSP_IJLi2EEEENSP_IJLi3EEEENSP_IJLi4EEEENSP_IJLi5EEEENSP_IJLi6EEEENSP_IJLi7ELi9EEEENSP_IJLi8ELi10EEEENSP_IJLi11EEEENSP_IJLi12EEEENSP_IJLi14EEEENSP_IJLi13EEEEEEENS1_IJNSP_IJLi1ELi2ELi3EEEESU_SV_SW_NSP_IJLi7EEEENSP_IJLi8ELi9EEEENSP_IJLi10EEEESZ_S10_S12_S11_NSP_IJLi15ELi16EEEENSP_IJLi17EEEEEEENSP_IJLi15ELi17ELi16EEEElEENS8_INS1_IJSN_SL_SL_SN_SD_EEENS1_IJSQ_SR_SS_SU_ST_EEENS1_IJNSP_IJLi1ELi2EEEEST_SU_NSP_IJLi5ELi6EEEES15_EEENSP_IJLi5ELi7ELi6EEEElEENS8_INS1_IJSH_SL_SL_EEENS1_IJSQ_SR_SS_EEENS1_IJS1F_ST_SU_EEENSP_IJLi3ELi4EEEElEELi128ELi128ELi16ELi1ELi4ELi4ELi1ENSP_IJLi8ELi2EEEES1P_NSP_IJLi8ELi1ELi1ELi1EEEENSP_IJLi2ELi1ELi128ELi1EEEENSP_IJLi1ELi2ELi0ELi3EEEES1S_NSP_IJLi4ELi1ELi1ELi1EEEES1S_NSP_IJLi1ELi1ELi1ELi1EEEES1Q_S1R_S1S_S1S_S1T_S1S_S1U_NSP_IJLi0ELi1ELi2ELi3ELi4ELi5EEEELi5ELi4EE3RunINS1_IJNS8_INS1_IJSH_SL_SL_NSM_INS1_IJiNS_17integral_constantIiLi2EEENS1Y_IiLi64EEEEEELb0EEES22_EEENS1_IJSQ_SR_SS_ST_SU_EEENS1_IJS1F_ST_SU_NSP_IJLi5ELi6ELi7EEEENSP_IJLi8ELi9ELi10EEEEEEENSP_IJLi5ELi6ELi7ELi8ELi9ELi10EEEElEEEEELb1ELb1ENS_31BlockToCTileMap_M00_N00_M01_N01ILi128ELi128ES1O_Lb0EEEEEvPKfS2E_NS1_IJS2E_EEEPfPvRKS5_S2J_RKS6_RKNS8_INS1_IJSB_SD_SF_SD_SD_SH_SD_SJ_SJ_SL_SL_SN_SD_SD_NSM_INS1_IJiNS1Y_IiLi128EEEEEELb0EEENSC_INS1Y_IiLi1EEEEEEEENS1_IJSQ_SR_SS_ST_SU_SV_SW_SX_SY_SZ_S10_S11_S12_NSP_IJLi15EEEES19_NSP_IJLi16EEEEEEENS1_IJS14_SU_SV_SW_S15_S16_S17_SZ_S10_S12_S11_S18_S19_NSP_IJLi18EEEENSP_IJLi19ELi20EEEENSP_IJLi21EEEEEEENSP_IJLi18ELi19ELi20ELi21EEEElEERKNS8_INS1_IJSN_SL_SL_SN_SD_SD_S2O_S2Q_EEENS1_IJSQ_SR_SS_SU_ST_SV_S15_SW_EEENS1_IJS1F_ST_SU_S1G_S15_NSP_IJLi8EEEENSP_IJLi9ELi10EEEESZ_EEENSP_IJLi8ELi9ELi10ELi11EEEElEERKT_RKS29_RKT2_NS1Y_IbXT0_EEENS1Y_IbXT1_EEE, .Lfunc_end1-_ZN2ck32GridwiseGemmDlMultipleD_km_kn_mnILi256EffNS_5TupleIJfEEEfNS_16tensor_operation12element_wise11PassThroughES5_NS4_7AddReluELNS_25InMemoryDataOperationEnumE0ENS_16TensorDescriptorINS1_IJNS_5EmbedINS1_IJiiiEEESA_Lb0EEENS_11PassThroughIiEENS_3PadIiiiLb0EEESD_SD_NS9_INS1_IJiiEEESG_Lb0EEESD_NS_23Merge_v2_magic_divisionISG_EESJ_NS_8RightPadIiiLb0EEESL_NS_7UnMergeISG_Lb0EEESD_EEENS1_IJNS_8SequenceIJLi0EEEENSP_IJLi1EEEENSP_IJLi2EEEENSP_IJLi3EEEENSP_IJLi4EEEENSP_IJLi5EEEENSP_IJLi6EEEENSP_IJLi7ELi9EEEENSP_IJLi8ELi10EEEENSP_IJLi11EEEENSP_IJLi12EEEENSP_IJLi14EEEENSP_IJLi13EEEEEEENS1_IJNSP_IJLi1ELi2ELi3EEEESU_SV_SW_NSP_IJLi7EEEENSP_IJLi8ELi9EEEENSP_IJLi10EEEESZ_S10_S12_S11_NSP_IJLi15ELi16EEEENSP_IJLi17EEEEEEENSP_IJLi15ELi17ELi16EEEElEENS8_INS1_IJSN_SL_SL_SN_SD_EEENS1_IJSQ_SR_SS_SU_ST_EEENS1_IJNSP_IJLi1ELi2EEEEST_SU_NSP_IJLi5ELi6EEEES15_EEENSP_IJLi5ELi7ELi6EEEElEENS8_INS1_IJSH_SL_SL_EEENS1_IJSQ_SR_SS_EEENS1_IJS1F_ST_SU_EEENSP_IJLi3ELi4EEEElEELi128ELi128ELi16ELi1ELi4ELi4ELi1ENSP_IJLi8ELi2EEEES1P_NSP_IJLi8ELi1ELi1ELi1EEEENSP_IJLi2ELi1ELi128ELi1EEEENSP_IJLi1ELi2ELi0ELi3EEEES1S_NSP_IJLi4ELi1ELi1ELi1EEEES1S_NSP_IJLi1ELi1ELi1ELi1EEEES1Q_S1R_S1S_S1S_S1T_S1S_S1U_NSP_IJLi0ELi1ELi2ELi3ELi4ELi5EEEELi5ELi4EE3RunINS1_IJNS8_INS1_IJSH_SL_SL_NSM_INS1_IJiNS_17integral_constantIiLi2EEENS1Y_IiLi64EEEEEELb0EEES22_EEENS1_IJSQ_SR_SS_ST_SU_EEENS1_IJS1F_ST_SU_NSP_IJLi5ELi6ELi7EEEENSP_IJLi8ELi9ELi10EEEEEEENSP_IJLi5ELi6ELi7ELi8ELi9ELi10EEEElEEEEELb1ELb1ENS_31BlockToCTileMap_M00_N00_M01_N01ILi128ELi128ES1O_Lb0EEEEEvPKfS2E_NS1_IJS2E_EEEPfPvRKS5_S2J_RKS6_RKNS8_INS1_IJSB_SD_SF_SD_SD_SH_SD_SJ_SJ_SL_SL_SN_SD_SD_NSM_INS1_IJiNS1Y_IiLi128EEEEEELb0EEENSC_INS1Y_IiLi1EEEEEEEENS1_IJSQ_SR_SS_ST_SU_SV_SW_SX_SY_SZ_S10_S11_S12_NSP_IJLi15EEEES19_NSP_IJLi16EEEEEEENS1_IJS14_SU_SV_SW_S15_S16_S17_SZ_S10_S12_S11_S18_S19_NSP_IJLi18EEEENSP_IJLi19ELi20EEEENSP_IJLi21EEEEEEENSP_IJLi18ELi19ELi20ELi21EEEElEERKNS8_INS1_IJSN_SL_SL_SN_SD_SD_S2O_S2Q_EEENS1_IJSQ_SR_SS_SU_ST_SV_S15_SW_EEENS1_IJS1F_ST_SU_S1G_S15_NSP_IJLi8EEEENSP_IJLi9ELi10EEEESZ_EEENSP_IJLi8ELi9ELi10ELi11EEEElEERKT_RKS29_RKT2_NS1Y_IbXT0_EEENS1Y_IbXT1_EEE
                                        ; -- End function
	.section	.AMDGPU.csdata,"",@progbits
; Function info:
; codeLenInByte = 44944
; NumSgprs: 36
; NumVgprs: 128
; NumAgprs: 12
; TotalNumVgprs: 140
; ScratchSize: 0
; MemoryBound: 0
	.section	.text._ZN2ck16tensor_operation6device12_GLOBAL__N_137kernel_grouped_conv_fwd_dl_multiple_dINS_32GridwiseGemmDlMultipleD_km_kn_mnILi256EffNS_5TupleIJfEEEfNS0_12element_wise11PassThroughES8_NS7_7AddReluELNS_25InMemoryDataOperationEnumE0ENS_16TensorDescriptorINS5_IJNS_5EmbedINS5_IJiiiEEESD_Lb0EEENS_11PassThroughIiEENS_3PadIiiiLb0EEESG_SG_NSC_INS5_IJiiEEESJ_Lb0EEESG_NS_23Merge_v2_magic_divisionISJ_EESM_NS_8RightPadIiiLb0EEESO_NS_7UnMergeISJ_Lb0EEESG_EEENS5_IJNS_8SequenceIJLi0EEEENSS_IJLi1EEEENSS_IJLi2EEEENSS_IJLi3EEEENSS_IJLi4EEEENSS_IJLi5EEEENSS_IJLi6EEEENSS_IJLi7ELi9EEEENSS_IJLi8ELi10EEEENSS_IJLi11EEEENSS_IJLi12EEEENSS_IJLi14EEEENSS_IJLi13EEEEEEENS5_IJNSS_IJLi1ELi2ELi3EEEESX_SY_SZ_NSS_IJLi7EEEENSS_IJLi8ELi9EEEENSS_IJLi10EEEES12_S13_S15_S14_NSS_IJLi15ELi16EEEENSS_IJLi17EEEEEEENSS_IJLi15ELi17ELi16EEEElEENSB_INS5_IJSQ_SO_SO_SQ_SG_EEENS5_IJST_SU_SV_SX_SW_EEENS5_IJNSS_IJLi1ELi2EEEESW_SX_NSS_IJLi5ELi6EEEES18_EEENSS_IJLi5ELi7ELi6EEEElEENSB_INS5_IJSK_SO_SO_EEENS5_IJST_SU_SV_EEENS5_IJS1I_SW_SX_EEENSS_IJLi3ELi4EEEElEELi128ELi128ELi16ELi1ELi4ELi4ELi1ENSS_IJLi8ELi2EEEES1S_NSS_IJLi8ELi1ELi1ELi1EEEENSS_IJLi2ELi1ELi128ELi1EEEENSS_IJLi1ELi2ELi0ELi3EEEES1V_NSS_IJLi4ELi1ELi1ELi1EEEES1V_NSS_IJLi1ELi1ELi1ELi1EEEES1T_S1U_S1V_S1V_S1W_S1V_S1X_NSS_IJLi0ELi1ELi2ELi3ELi4ELi5EEEELi5ELi4EEEfNS5_IJPKfEEEfS8_S8_S9_NSB_INS5_IJSE_SG_SI_SG_SG_SK_SG_SM_SM_SO_SO_SQ_SG_SG_NSP_INS5_IJiNS_17integral_constantIiLi128EEEEEELb0EEENSF_INS23_IiLi1EEEEEEEENS5_IJST_SU_SV_SW_SX_SY_SZ_S10_S11_S12_S13_S14_S15_NSS_IJLi15EEEES1C_NSS_IJLi16EEEEEEENS5_IJS17_SX_SY_SZ_S18_S19_S1A_S12_S13_S15_S14_S1B_S1C_NSS_IJLi18EEEENSS_IJLi19ELi20EEEENSS_IJLi21EEEEEEENSS_IJLi18ELi19ELi20ELi21EEEElEENSB_INS5_IJSQ_SO_SO_SQ_SG_SG_S26_S28_EEENS5_IJST_SU_SV_SX_SW_SY_S18_SZ_EEENS5_IJS1I_SW_SX_S1J_S18_NSS_IJLi8EEEENSS_IJLi9ELi10EEEES12_EEENSS_IJLi8ELi9ELi10ELi11EEEElEENS5_IJNSB_INS5_IJSK_SO_SO_NSP_INS5_IJiNS23_IiLi2EEENS23_IiLi64EEEEEELb0EEES2T_EEENS5_IJST_SU_SV_SW_SX_EEENS5_IJS1I_SW_SX_NSS_IJLi5ELi6ELi7EEEENSS_IJLi8ELi9ELi10EEEEEEENSS_IJLi5ELi6ELi7ELi8ELi9ELi10EEEElEEEEES30_NS_31BlockToCTileMap_M00_N00_M01_N01ILi128ELi128ES1R_Lb0EEENS1_30ComputePtrOffsetOfStridedBatchILi1ELi1ELi1EvEELb1ELb1EEEvPKT0_S38_T1_PT2_T3_T4_T5_iT6_T7_T8_T9_T10_T11_,"axG",@progbits,_ZN2ck16tensor_operation6device12_GLOBAL__N_137kernel_grouped_conv_fwd_dl_multiple_dINS_32GridwiseGemmDlMultipleD_km_kn_mnILi256EffNS_5TupleIJfEEEfNS0_12element_wise11PassThroughES8_NS7_7AddReluELNS_25InMemoryDataOperationEnumE0ENS_16TensorDescriptorINS5_IJNS_5EmbedINS5_IJiiiEEESD_Lb0EEENS_11PassThroughIiEENS_3PadIiiiLb0EEESG_SG_NSC_INS5_IJiiEEESJ_Lb0EEESG_NS_23Merge_v2_magic_divisionISJ_EESM_NS_8RightPadIiiLb0EEESO_NS_7UnMergeISJ_Lb0EEESG_EEENS5_IJNS_8SequenceIJLi0EEEENSS_IJLi1EEEENSS_IJLi2EEEENSS_IJLi3EEEENSS_IJLi4EEEENSS_IJLi5EEEENSS_IJLi6EEEENSS_IJLi7ELi9EEEENSS_IJLi8ELi10EEEENSS_IJLi11EEEENSS_IJLi12EEEENSS_IJLi14EEEENSS_IJLi13EEEEEEENS5_IJNSS_IJLi1ELi2ELi3EEEESX_SY_SZ_NSS_IJLi7EEEENSS_IJLi8ELi9EEEENSS_IJLi10EEEES12_S13_S15_S14_NSS_IJLi15ELi16EEEENSS_IJLi17EEEEEEENSS_IJLi15ELi17ELi16EEEElEENSB_INS5_IJSQ_SO_SO_SQ_SG_EEENS5_IJST_SU_SV_SX_SW_EEENS5_IJNSS_IJLi1ELi2EEEESW_SX_NSS_IJLi5ELi6EEEES18_EEENSS_IJLi5ELi7ELi6EEEElEENSB_INS5_IJSK_SO_SO_EEENS5_IJST_SU_SV_EEENS5_IJS1I_SW_SX_EEENSS_IJLi3ELi4EEEElEELi128ELi128ELi16ELi1ELi4ELi4ELi1ENSS_IJLi8ELi2EEEES1S_NSS_IJLi8ELi1ELi1ELi1EEEENSS_IJLi2ELi1ELi128ELi1EEEENSS_IJLi1ELi2ELi0ELi3EEEES1V_NSS_IJLi4ELi1ELi1ELi1EEEES1V_NSS_IJLi1ELi1ELi1ELi1EEEES1T_S1U_S1V_S1V_S1W_S1V_S1X_NSS_IJLi0ELi1ELi2ELi3ELi4ELi5EEEELi5ELi4EEEfNS5_IJPKfEEEfS8_S8_S9_NSB_INS5_IJSE_SG_SI_SG_SG_SK_SG_SM_SM_SO_SO_SQ_SG_SG_NSP_INS5_IJiNS_17integral_constantIiLi128EEEEEELb0EEENSF_INS23_IiLi1EEEEEEEENS5_IJST_SU_SV_SW_SX_SY_SZ_S10_S11_S12_S13_S14_S15_NSS_IJLi15EEEES1C_NSS_IJLi16EEEEEEENS5_IJS17_SX_SY_SZ_S18_S19_S1A_S12_S13_S15_S14_S1B_S1C_NSS_IJLi18EEEENSS_IJLi19ELi20EEEENSS_IJLi21EEEEEEENSS_IJLi18ELi19ELi20ELi21EEEElEENSB_INS5_IJSQ_SO_SO_SQ_SG_SG_S26_S28_EEENS5_IJST_SU_SV_SX_SW_SY_S18_SZ_EEENS5_IJS1I_SW_SX_S1J_S18_NSS_IJLi8EEEENSS_IJLi9ELi10EEEES12_EEENSS_IJLi8ELi9ELi10ELi11EEEElEENS5_IJNSB_INS5_IJSK_SO_SO_NSP_INS5_IJiNS23_IiLi2EEENS23_IiLi64EEEEEELb0EEES2T_EEENS5_IJST_SU_SV_SW_SX_EEENS5_IJS1I_SW_SX_NSS_IJLi5ELi6ELi7EEEENSS_IJLi8ELi9ELi10EEEEEEENSS_IJLi5ELi6ELi7ELi8ELi9ELi10EEEElEEEEES30_NS_31BlockToCTileMap_M00_N00_M01_N01ILi128ELi128ES1R_Lb0EEENS1_30ComputePtrOffsetOfStridedBatchILi1ELi1ELi1EvEELb1ELb1EEEvPKT0_S38_T1_PT2_T3_T4_T5_iT6_T7_T8_T9_T10_T11_,comdat
	.globl	_ZN2ck16tensor_operation6device12_GLOBAL__N_137kernel_grouped_conv_fwd_dl_multiple_dINS_32GridwiseGemmDlMultipleD_km_kn_mnILi256EffNS_5TupleIJfEEEfNS0_12element_wise11PassThroughES8_NS7_7AddReluELNS_25InMemoryDataOperationEnumE0ENS_16TensorDescriptorINS5_IJNS_5EmbedINS5_IJiiiEEESD_Lb0EEENS_11PassThroughIiEENS_3PadIiiiLb0EEESG_SG_NSC_INS5_IJiiEEESJ_Lb0EEESG_NS_23Merge_v2_magic_divisionISJ_EESM_NS_8RightPadIiiLb0EEESO_NS_7UnMergeISJ_Lb0EEESG_EEENS5_IJNS_8SequenceIJLi0EEEENSS_IJLi1EEEENSS_IJLi2EEEENSS_IJLi3EEEENSS_IJLi4EEEENSS_IJLi5EEEENSS_IJLi6EEEENSS_IJLi7ELi9EEEENSS_IJLi8ELi10EEEENSS_IJLi11EEEENSS_IJLi12EEEENSS_IJLi14EEEENSS_IJLi13EEEEEEENS5_IJNSS_IJLi1ELi2ELi3EEEESX_SY_SZ_NSS_IJLi7EEEENSS_IJLi8ELi9EEEENSS_IJLi10EEEES12_S13_S15_S14_NSS_IJLi15ELi16EEEENSS_IJLi17EEEEEEENSS_IJLi15ELi17ELi16EEEElEENSB_INS5_IJSQ_SO_SO_SQ_SG_EEENS5_IJST_SU_SV_SX_SW_EEENS5_IJNSS_IJLi1ELi2EEEESW_SX_NSS_IJLi5ELi6EEEES18_EEENSS_IJLi5ELi7ELi6EEEElEENSB_INS5_IJSK_SO_SO_EEENS5_IJST_SU_SV_EEENS5_IJS1I_SW_SX_EEENSS_IJLi3ELi4EEEElEELi128ELi128ELi16ELi1ELi4ELi4ELi1ENSS_IJLi8ELi2EEEES1S_NSS_IJLi8ELi1ELi1ELi1EEEENSS_IJLi2ELi1ELi128ELi1EEEENSS_IJLi1ELi2ELi0ELi3EEEES1V_NSS_IJLi4ELi1ELi1ELi1EEEES1V_NSS_IJLi1ELi1ELi1ELi1EEEES1T_S1U_S1V_S1V_S1W_S1V_S1X_NSS_IJLi0ELi1ELi2ELi3ELi4ELi5EEEELi5ELi4EEEfNS5_IJPKfEEEfS8_S8_S9_NSB_INS5_IJSE_SG_SI_SG_SG_SK_SG_SM_SM_SO_SO_SQ_SG_SG_NSP_INS5_IJiNS_17integral_constantIiLi128EEEEEELb0EEENSF_INS23_IiLi1EEEEEEEENS5_IJST_SU_SV_SW_SX_SY_SZ_S10_S11_S12_S13_S14_S15_NSS_IJLi15EEEES1C_NSS_IJLi16EEEEEEENS5_IJS17_SX_SY_SZ_S18_S19_S1A_S12_S13_S15_S14_S1B_S1C_NSS_IJLi18EEEENSS_IJLi19ELi20EEEENSS_IJLi21EEEEEEENSS_IJLi18ELi19ELi20ELi21EEEElEENSB_INS5_IJSQ_SO_SO_SQ_SG_SG_S26_S28_EEENS5_IJST_SU_SV_SX_SW_SY_S18_SZ_EEENS5_IJS1I_SW_SX_S1J_S18_NSS_IJLi8EEEENSS_IJLi9ELi10EEEES12_EEENSS_IJLi8ELi9ELi10ELi11EEEElEENS5_IJNSB_INS5_IJSK_SO_SO_NSP_INS5_IJiNS23_IiLi2EEENS23_IiLi64EEEEEELb0EEES2T_EEENS5_IJST_SU_SV_SW_SX_EEENS5_IJS1I_SW_SX_NSS_IJLi5ELi6ELi7EEEENSS_IJLi8ELi9ELi10EEEEEEENSS_IJLi5ELi6ELi7ELi8ELi9ELi10EEEElEEEEES30_NS_31BlockToCTileMap_M00_N00_M01_N01ILi128ELi128ES1R_Lb0EEENS1_30ComputePtrOffsetOfStridedBatchILi1ELi1ELi1EvEELb1ELb1EEEvPKT0_S38_T1_PT2_T3_T4_T5_iT6_T7_T8_T9_T10_T11_ ; -- Begin function _ZN2ck16tensor_operation6device12_GLOBAL__N_137kernel_grouped_conv_fwd_dl_multiple_dINS_32GridwiseGemmDlMultipleD_km_kn_mnILi256EffNS_5TupleIJfEEEfNS0_12element_wise11PassThroughES8_NS7_7AddReluELNS_25InMemoryDataOperationEnumE0ENS_16TensorDescriptorINS5_IJNS_5EmbedINS5_IJiiiEEESD_Lb0EEENS_11PassThroughIiEENS_3PadIiiiLb0EEESG_SG_NSC_INS5_IJiiEEESJ_Lb0EEESG_NS_23Merge_v2_magic_divisionISJ_EESM_NS_8RightPadIiiLb0EEESO_NS_7UnMergeISJ_Lb0EEESG_EEENS5_IJNS_8SequenceIJLi0EEEENSS_IJLi1EEEENSS_IJLi2EEEENSS_IJLi3EEEENSS_IJLi4EEEENSS_IJLi5EEEENSS_IJLi6EEEENSS_IJLi7ELi9EEEENSS_IJLi8ELi10EEEENSS_IJLi11EEEENSS_IJLi12EEEENSS_IJLi14EEEENSS_IJLi13EEEEEEENS5_IJNSS_IJLi1ELi2ELi3EEEESX_SY_SZ_NSS_IJLi7EEEENSS_IJLi8ELi9EEEENSS_IJLi10EEEES12_S13_S15_S14_NSS_IJLi15ELi16EEEENSS_IJLi17EEEEEEENSS_IJLi15ELi17ELi16EEEElEENSB_INS5_IJSQ_SO_SO_SQ_SG_EEENS5_IJST_SU_SV_SX_SW_EEENS5_IJNSS_IJLi1ELi2EEEESW_SX_NSS_IJLi5ELi6EEEES18_EEENSS_IJLi5ELi7ELi6EEEElEENSB_INS5_IJSK_SO_SO_EEENS5_IJST_SU_SV_EEENS5_IJS1I_SW_SX_EEENSS_IJLi3ELi4EEEElEELi128ELi128ELi16ELi1ELi4ELi4ELi1ENSS_IJLi8ELi2EEEES1S_NSS_IJLi8ELi1ELi1ELi1EEEENSS_IJLi2ELi1ELi128ELi1EEEENSS_IJLi1ELi2ELi0ELi3EEEES1V_NSS_IJLi4ELi1ELi1ELi1EEEES1V_NSS_IJLi1ELi1ELi1ELi1EEEES1T_S1U_S1V_S1V_S1W_S1V_S1X_NSS_IJLi0ELi1ELi2ELi3ELi4ELi5EEEELi5ELi4EEEfNS5_IJPKfEEEfS8_S8_S9_NSB_INS5_IJSE_SG_SI_SG_SG_SK_SG_SM_SM_SO_SO_SQ_SG_SG_NSP_INS5_IJiNS_17integral_constantIiLi128EEEEEELb0EEENSF_INS23_IiLi1EEEEEEEENS5_IJST_SU_SV_SW_SX_SY_SZ_S10_S11_S12_S13_S14_S15_NSS_IJLi15EEEES1C_NSS_IJLi16EEEEEEENS5_IJS17_SX_SY_SZ_S18_S19_S1A_S12_S13_S15_S14_S1B_S1C_NSS_IJLi18EEEENSS_IJLi19ELi20EEEENSS_IJLi21EEEEEEENSS_IJLi18ELi19ELi20ELi21EEEElEENSB_INS5_IJSQ_SO_SO_SQ_SG_SG_S26_S28_EEENS5_IJST_SU_SV_SX_SW_SY_S18_SZ_EEENS5_IJS1I_SW_SX_S1J_S18_NSS_IJLi8EEEENSS_IJLi9ELi10EEEES12_EEENSS_IJLi8ELi9ELi10ELi11EEEElEENS5_IJNSB_INS5_IJSK_SO_SO_NSP_INS5_IJiNS23_IiLi2EEENS23_IiLi64EEEEEELb0EEES2T_EEENS5_IJST_SU_SV_SW_SX_EEENS5_IJS1I_SW_SX_NSS_IJLi5ELi6ELi7EEEENSS_IJLi8ELi9ELi10EEEEEEENSS_IJLi5ELi6ELi7ELi8ELi9ELi10EEEElEEEEES30_NS_31BlockToCTileMap_M00_N00_M01_N01ILi128ELi128ES1R_Lb0EEENS1_30ComputePtrOffsetOfStridedBatchILi1ELi1ELi1EvEELb1ELb1EEEvPKT0_S38_T1_PT2_T3_T4_T5_iT6_T7_T8_T9_T10_T11_
	.p2align	8
	.type	_ZN2ck16tensor_operation6device12_GLOBAL__N_137kernel_grouped_conv_fwd_dl_multiple_dINS_32GridwiseGemmDlMultipleD_km_kn_mnILi256EffNS_5TupleIJfEEEfNS0_12element_wise11PassThroughES8_NS7_7AddReluELNS_25InMemoryDataOperationEnumE0ENS_16TensorDescriptorINS5_IJNS_5EmbedINS5_IJiiiEEESD_Lb0EEENS_11PassThroughIiEENS_3PadIiiiLb0EEESG_SG_NSC_INS5_IJiiEEESJ_Lb0EEESG_NS_23Merge_v2_magic_divisionISJ_EESM_NS_8RightPadIiiLb0EEESO_NS_7UnMergeISJ_Lb0EEESG_EEENS5_IJNS_8SequenceIJLi0EEEENSS_IJLi1EEEENSS_IJLi2EEEENSS_IJLi3EEEENSS_IJLi4EEEENSS_IJLi5EEEENSS_IJLi6EEEENSS_IJLi7ELi9EEEENSS_IJLi8ELi10EEEENSS_IJLi11EEEENSS_IJLi12EEEENSS_IJLi14EEEENSS_IJLi13EEEEEEENS5_IJNSS_IJLi1ELi2ELi3EEEESX_SY_SZ_NSS_IJLi7EEEENSS_IJLi8ELi9EEEENSS_IJLi10EEEES12_S13_S15_S14_NSS_IJLi15ELi16EEEENSS_IJLi17EEEEEEENSS_IJLi15ELi17ELi16EEEElEENSB_INS5_IJSQ_SO_SO_SQ_SG_EEENS5_IJST_SU_SV_SX_SW_EEENS5_IJNSS_IJLi1ELi2EEEESW_SX_NSS_IJLi5ELi6EEEES18_EEENSS_IJLi5ELi7ELi6EEEElEENSB_INS5_IJSK_SO_SO_EEENS5_IJST_SU_SV_EEENS5_IJS1I_SW_SX_EEENSS_IJLi3ELi4EEEElEELi128ELi128ELi16ELi1ELi4ELi4ELi1ENSS_IJLi8ELi2EEEES1S_NSS_IJLi8ELi1ELi1ELi1EEEENSS_IJLi2ELi1ELi128ELi1EEEENSS_IJLi1ELi2ELi0ELi3EEEES1V_NSS_IJLi4ELi1ELi1ELi1EEEES1V_NSS_IJLi1ELi1ELi1ELi1EEEES1T_S1U_S1V_S1V_S1W_S1V_S1X_NSS_IJLi0ELi1ELi2ELi3ELi4ELi5EEEELi5ELi4EEEfNS5_IJPKfEEEfS8_S8_S9_NSB_INS5_IJSE_SG_SI_SG_SG_SK_SG_SM_SM_SO_SO_SQ_SG_SG_NSP_INS5_IJiNS_17integral_constantIiLi128EEEEEELb0EEENSF_INS23_IiLi1EEEEEEEENS5_IJST_SU_SV_SW_SX_SY_SZ_S10_S11_S12_S13_S14_S15_NSS_IJLi15EEEES1C_NSS_IJLi16EEEEEEENS5_IJS17_SX_SY_SZ_S18_S19_S1A_S12_S13_S15_S14_S1B_S1C_NSS_IJLi18EEEENSS_IJLi19ELi20EEEENSS_IJLi21EEEEEEENSS_IJLi18ELi19ELi20ELi21EEEElEENSB_INS5_IJSQ_SO_SO_SQ_SG_SG_S26_S28_EEENS5_IJST_SU_SV_SX_SW_SY_S18_SZ_EEENS5_IJS1I_SW_SX_S1J_S18_NSS_IJLi8EEEENSS_IJLi9ELi10EEEES12_EEENSS_IJLi8ELi9ELi10ELi11EEEElEENS5_IJNSB_INS5_IJSK_SO_SO_NSP_INS5_IJiNS23_IiLi2EEENS23_IiLi64EEEEEELb0EEES2T_EEENS5_IJST_SU_SV_SW_SX_EEENS5_IJS1I_SW_SX_NSS_IJLi5ELi6ELi7EEEENSS_IJLi8ELi9ELi10EEEEEEENSS_IJLi5ELi6ELi7ELi8ELi9ELi10EEEElEEEEES30_NS_31BlockToCTileMap_M00_N00_M01_N01ILi128ELi128ES1R_Lb0EEENS1_30ComputePtrOffsetOfStridedBatchILi1ELi1ELi1EvEELb1ELb1EEEvPKT0_S38_T1_PT2_T3_T4_T5_iT6_T7_T8_T9_T10_T11_,@function
_ZN2ck16tensor_operation6device12_GLOBAL__N_137kernel_grouped_conv_fwd_dl_multiple_dINS_32GridwiseGemmDlMultipleD_km_kn_mnILi256EffNS_5TupleIJfEEEfNS0_12element_wise11PassThroughES8_NS7_7AddReluELNS_25InMemoryDataOperationEnumE0ENS_16TensorDescriptorINS5_IJNS_5EmbedINS5_IJiiiEEESD_Lb0EEENS_11PassThroughIiEENS_3PadIiiiLb0EEESG_SG_NSC_INS5_IJiiEEESJ_Lb0EEESG_NS_23Merge_v2_magic_divisionISJ_EESM_NS_8RightPadIiiLb0EEESO_NS_7UnMergeISJ_Lb0EEESG_EEENS5_IJNS_8SequenceIJLi0EEEENSS_IJLi1EEEENSS_IJLi2EEEENSS_IJLi3EEEENSS_IJLi4EEEENSS_IJLi5EEEENSS_IJLi6EEEENSS_IJLi7ELi9EEEENSS_IJLi8ELi10EEEENSS_IJLi11EEEENSS_IJLi12EEEENSS_IJLi14EEEENSS_IJLi13EEEEEEENS5_IJNSS_IJLi1ELi2ELi3EEEESX_SY_SZ_NSS_IJLi7EEEENSS_IJLi8ELi9EEEENSS_IJLi10EEEES12_S13_S15_S14_NSS_IJLi15ELi16EEEENSS_IJLi17EEEEEEENSS_IJLi15ELi17ELi16EEEElEENSB_INS5_IJSQ_SO_SO_SQ_SG_EEENS5_IJST_SU_SV_SX_SW_EEENS5_IJNSS_IJLi1ELi2EEEESW_SX_NSS_IJLi5ELi6EEEES18_EEENSS_IJLi5ELi7ELi6EEEElEENSB_INS5_IJSK_SO_SO_EEENS5_IJST_SU_SV_EEENS5_IJS1I_SW_SX_EEENSS_IJLi3ELi4EEEElEELi128ELi128ELi16ELi1ELi4ELi4ELi1ENSS_IJLi8ELi2EEEES1S_NSS_IJLi8ELi1ELi1ELi1EEEENSS_IJLi2ELi1ELi128ELi1EEEENSS_IJLi1ELi2ELi0ELi3EEEES1V_NSS_IJLi4ELi1ELi1ELi1EEEES1V_NSS_IJLi1ELi1ELi1ELi1EEEES1T_S1U_S1V_S1V_S1W_S1V_S1X_NSS_IJLi0ELi1ELi2ELi3ELi4ELi5EEEELi5ELi4EEEfNS5_IJPKfEEEfS8_S8_S9_NSB_INS5_IJSE_SG_SI_SG_SG_SK_SG_SM_SM_SO_SO_SQ_SG_SG_NSP_INS5_IJiNS_17integral_constantIiLi128EEEEEELb0EEENSF_INS23_IiLi1EEEEEEEENS5_IJST_SU_SV_SW_SX_SY_SZ_S10_S11_S12_S13_S14_S15_NSS_IJLi15EEEES1C_NSS_IJLi16EEEEEEENS5_IJS17_SX_SY_SZ_S18_S19_S1A_S12_S13_S15_S14_S1B_S1C_NSS_IJLi18EEEENSS_IJLi19ELi20EEEENSS_IJLi21EEEEEEENSS_IJLi18ELi19ELi20ELi21EEEElEENSB_INS5_IJSQ_SO_SO_SQ_SG_SG_S26_S28_EEENS5_IJST_SU_SV_SX_SW_SY_S18_SZ_EEENS5_IJS1I_SW_SX_S1J_S18_NSS_IJLi8EEEENSS_IJLi9ELi10EEEES12_EEENSS_IJLi8ELi9ELi10ELi11EEEElEENS5_IJNSB_INS5_IJSK_SO_SO_NSP_INS5_IJiNS23_IiLi2EEENS23_IiLi64EEEEEELb0EEES2T_EEENS5_IJST_SU_SV_SW_SX_EEENS5_IJS1I_SW_SX_NSS_IJLi5ELi6ELi7EEEENSS_IJLi8ELi9ELi10EEEEEEENSS_IJLi5ELi6ELi7ELi8ELi9ELi10EEEElEEEEES30_NS_31BlockToCTileMap_M00_N00_M01_N01ILi128ELi128ES1R_Lb0EEENS1_30ComputePtrOffsetOfStridedBatchILi1ELi1ELi1EvEELb1ELb1EEEvPKT0_S38_T1_PT2_T3_T4_T5_iT6_T7_T8_T9_T10_T11_: ; @_ZN2ck16tensor_operation6device12_GLOBAL__N_137kernel_grouped_conv_fwd_dl_multiple_dINS_32GridwiseGemmDlMultipleD_km_kn_mnILi256EffNS_5TupleIJfEEEfNS0_12element_wise11PassThroughES8_NS7_7AddReluELNS_25InMemoryDataOperationEnumE0ENS_16TensorDescriptorINS5_IJNS_5EmbedINS5_IJiiiEEESD_Lb0EEENS_11PassThroughIiEENS_3PadIiiiLb0EEESG_SG_NSC_INS5_IJiiEEESJ_Lb0EEESG_NS_23Merge_v2_magic_divisionISJ_EESM_NS_8RightPadIiiLb0EEESO_NS_7UnMergeISJ_Lb0EEESG_EEENS5_IJNS_8SequenceIJLi0EEEENSS_IJLi1EEEENSS_IJLi2EEEENSS_IJLi3EEEENSS_IJLi4EEEENSS_IJLi5EEEENSS_IJLi6EEEENSS_IJLi7ELi9EEEENSS_IJLi8ELi10EEEENSS_IJLi11EEEENSS_IJLi12EEEENSS_IJLi14EEEENSS_IJLi13EEEEEEENS5_IJNSS_IJLi1ELi2ELi3EEEESX_SY_SZ_NSS_IJLi7EEEENSS_IJLi8ELi9EEEENSS_IJLi10EEEES12_S13_S15_S14_NSS_IJLi15ELi16EEEENSS_IJLi17EEEEEEENSS_IJLi15ELi17ELi16EEEElEENSB_INS5_IJSQ_SO_SO_SQ_SG_EEENS5_IJST_SU_SV_SX_SW_EEENS5_IJNSS_IJLi1ELi2EEEESW_SX_NSS_IJLi5ELi6EEEES18_EEENSS_IJLi5ELi7ELi6EEEElEENSB_INS5_IJSK_SO_SO_EEENS5_IJST_SU_SV_EEENS5_IJS1I_SW_SX_EEENSS_IJLi3ELi4EEEElEELi128ELi128ELi16ELi1ELi4ELi4ELi1ENSS_IJLi8ELi2EEEES1S_NSS_IJLi8ELi1ELi1ELi1EEEENSS_IJLi2ELi1ELi128ELi1EEEENSS_IJLi1ELi2ELi0ELi3EEEES1V_NSS_IJLi4ELi1ELi1ELi1EEEES1V_NSS_IJLi1ELi1ELi1ELi1EEEES1T_S1U_S1V_S1V_S1W_S1V_S1X_NSS_IJLi0ELi1ELi2ELi3ELi4ELi5EEEELi5ELi4EEEfNS5_IJPKfEEEfS8_S8_S9_NSB_INS5_IJSE_SG_SI_SG_SG_SK_SG_SM_SM_SO_SO_SQ_SG_SG_NSP_INS5_IJiNS_17integral_constantIiLi128EEEEEELb0EEENSF_INS23_IiLi1EEEEEEEENS5_IJST_SU_SV_SW_SX_SY_SZ_S10_S11_S12_S13_S14_S15_NSS_IJLi15EEEES1C_NSS_IJLi16EEEEEEENS5_IJS17_SX_SY_SZ_S18_S19_S1A_S12_S13_S15_S14_S1B_S1C_NSS_IJLi18EEEENSS_IJLi19ELi20EEEENSS_IJLi21EEEEEEENSS_IJLi18ELi19ELi20ELi21EEEElEENSB_INS5_IJSQ_SO_SO_SQ_SG_SG_S26_S28_EEENS5_IJST_SU_SV_SX_SW_SY_S18_SZ_EEENS5_IJS1I_SW_SX_S1J_S18_NSS_IJLi8EEEENSS_IJLi9ELi10EEEES12_EEENSS_IJLi8ELi9ELi10ELi11EEEElEENS5_IJNSB_INS5_IJSK_SO_SO_NSP_INS5_IJiNS23_IiLi2EEENS23_IiLi64EEEEEELb0EEES2T_EEENS5_IJST_SU_SV_SW_SX_EEENS5_IJS1I_SW_SX_NSS_IJLi5ELi6ELi7EEEENSS_IJLi8ELi9ELi10EEEEEEENSS_IJLi5ELi6ELi7ELi8ELi9ELi10EEEElEEEEES30_NS_31BlockToCTileMap_M00_N00_M01_N01ILi128ELi128ES1R_Lb0EEENS1_30ComputePtrOffsetOfStridedBatchILi1ELi1ELi1EvEELb1ELb1EEEvPKT0_S38_T1_PT2_T3_T4_T5_iT6_T7_T8_T9_T10_T11_
; %bb.0:
	s_add_u32 flat_scratch_lo, s6, s9
	s_mov_b32 s12, s8
	s_load_dwordx2 s[10:11], s[4:5], 0xe8
	s_load_dwordx8 s[16:23], s[4:5], 0x0
	s_load_dword s8, s[4:5], 0x24
	s_load_dwordx8 s[24:31], s[4:5], 0x28
	s_addc_u32 flat_scratch_hi, s7, 0
	s_add_u32 s0, s0, s9
	s_addc_u32 s1, s1, 0
	s_waitcnt lgkmcnt(0)
	v_mov_b32_e32 v1, s11
	buffer_store_dword v1, off, s[0:3], 0 offset:196
	v_mov_b32_e32 v1, s10
	buffer_store_dword v1, off, s[0:3], 0 offset:192
	v_mov_b32_e32 v1, s24
	buffer_store_dword v1, off, s[0:3], 0
	v_mov_b32_e32 v1, s25
	buffer_store_dword v1, off, s[0:3], 0 offset:4
	v_mov_b32_e32 v1, s26
	buffer_store_dword v1, off, s[0:3], 0 offset:8
	v_mov_b32_e32 v1, s27
	s_load_dwordx8 s[36:43], s[4:5], 0x48
	buffer_store_dword v1, off, s[0:3], 0 offset:12
	v_mov_b32_e32 v1, s28
	buffer_store_dword v1, off, s[0:3], 0 offset:16
	v_mov_b32_e32 v1, s29
	buffer_store_dword v1, off, s[0:3], 0 offset:20
	v_mov_b32_e32 v1, s30
	buffer_store_dword v1, off, s[0:3], 0 offset:24
	v_mov_b32_e32 v1, s31
	buffer_store_dword v1, off, s[0:3], 0 offset:28
	s_waitcnt lgkmcnt(0)
	v_mov_b32_e32 v1, s36
	buffer_store_dword v1, off, s[0:3], 0 offset:32
	v_mov_b32_e32 v1, s37
	buffer_store_dword v1, off, s[0:3], 0 offset:36
	v_mov_b32_e32 v1, s38
	buffer_store_dword v1, off, s[0:3], 0 offset:40
	v_mov_b32_e32 v1, s39
	s_load_dwordx8 s[24:31], s[4:5], 0x68
	buffer_store_dword v1, off, s[0:3], 0 offset:44
	v_mov_b32_e32 v1, s40
	buffer_store_dword v1, off, s[0:3], 0 offset:48
	v_mov_b32_e32 v1, s41
	buffer_store_dword v1, off, s[0:3], 0 offset:52
	v_mov_b32_e32 v1, s42
	buffer_store_dword v1, off, s[0:3], 0 offset:56
	v_mov_b32_e32 v1, s43
	buffer_store_dword v1, off, s[0:3], 0 offset:60
	s_waitcnt lgkmcnt(0)
	v_mov_b32_e32 v1, s24
	buffer_store_dword v1, off, s[0:3], 0 offset:64
	;; [unrolled: 18-line block ×6, first 2 shown]
	v_mov_b32_e32 v1, s26
	buffer_store_dword v1, off, s[0:3], 0 offset:208
	v_mov_b32_e32 v1, s25
	s_load_dwordx8 s[36:43], s[4:5], 0x110
	buffer_store_dword v1, off, s[0:3], 0 offset:204
	v_mov_b32_e32 v1, s24
	buffer_store_dword v1, off, s[0:3], 0 offset:200
	v_mov_b32_e32 v1, s31
	;; [unrolled: 2-line block ×5, first 2 shown]
	buffer_store_dword v1, off, s[0:3], 0 offset:216
	s_waitcnt lgkmcnt(0)
	v_mov_b32_e32 v1, s39
	buffer_store_dword v1, off, s[0:3], 0 offset:244
	v_mov_b32_e32 v1, s38
	buffer_store_dword v1, off, s[0:3], 0 offset:240
	v_mov_b32_e32 v1, s37
	buffer_store_dword v1, off, s[0:3], 0 offset:236
	v_mov_b32_e32 v1, s36
	s_load_dwordx8 s[44:51], s[4:5], 0x130
	buffer_store_dword v1, off, s[0:3], 0 offset:232
	v_mov_b32_e32 v1, s43
	buffer_store_dword v1, off, s[0:3], 0 offset:260
	v_mov_b32_e32 v1, s42
	;; [unrolled: 2-line block ×4, first 2 shown]
	buffer_store_dword v1, off, s[0:3], 0 offset:248
	s_waitcnt lgkmcnt(0)
	v_mov_b32_e32 v1, s47
	buffer_store_dword v1, off, s[0:3], 0 offset:276
	v_mov_b32_e32 v1, s46
	buffer_store_dword v1, off, s[0:3], 0 offset:272
	;; [unrolled: 2-line block ×5, first 2 shown]
	v_mov_b32_e32 v1, s50
	s_load_dwordx8 s[24:31], s[4:5], 0x190
	buffer_store_dword v1, off, s[0:3], 0 offset:288
	v_mov_b32_e32 v1, s49
	buffer_store_dword v1, off, s[0:3], 0 offset:284
	v_mov_b32_e32 v1, s48
	buffer_store_dword v1, off, s[0:3], 0 offset:280
	s_load_dwordx8 s[36:43], s[4:5], 0x150
	s_load_dwordx8 s[44:51], s[4:5], 0x170
	s_waitcnt lgkmcnt(0)
	v_mov_b32_e32 v1, s27
	buffer_store_dword v1, off, s[0:3], 0 offset:372
	v_mov_b32_e32 v1, s26
	buffer_store_dword v1, off, s[0:3], 0 offset:368
	;; [unrolled: 2-line block ×15, first 2 shown]
	v_mov_b32_e32 v1, s40
	s_load_dwordx8 s[40:47], s[4:5], 0x1d0
	buffer_store_dword v1, off, s[0:3], 0 offset:312
	v_mov_b32_e32 v1, s39
	buffer_store_dword v1, off, s[0:3], 0 offset:308
	v_mov_b32_e32 v1, s38
	;; [unrolled: 2-line block ×4, first 2 shown]
	buffer_store_dword v1, off, s[0:3], 0 offset:296
	s_waitcnt lgkmcnt(0)
	v_mov_b32_e32 v1, s47
	buffer_store_dword v1, off, s[0:3], 0 offset:452
	v_mov_b32_e32 v1, s46
	buffer_store_dword v1, off, s[0:3], 0 offset:448
	v_mov_b32_e32 v1, s45
	s_load_dwordx8 s[48:55], s[4:5], 0x1b0
	buffer_store_dword v1, off, s[0:3], 0 offset:444
	v_mov_b32_e32 v1, s44
	buffer_store_dword v1, off, s[0:3], 0 offset:440
	v_mov_b32_e32 v1, s43
	;; [unrolled: 2-line block ×5, first 2 shown]
	buffer_store_dword v1, off, s[0:3], 0 offset:424
	s_waitcnt lgkmcnt(0)
	v_mov_b32_e32 v1, s55
	buffer_store_dword v1, off, s[0:3], 0 offset:420
	v_mov_b32_e32 v1, s54
	buffer_store_dword v1, off, s[0:3], 0 offset:416
	;; [unrolled: 2-line block ×6, first 2 shown]
	v_mov_b32_e32 v1, s49
	s_mov_b64 s[6:7], src_private_base
	buffer_store_dword v1, off, s[0:3], 0 offset:396
	v_mov_b32_e32 v1, s48
	buffer_store_dword v1, off, s[0:3], 0 offset:392
	v_mov_b32_e32 v1, s31
	s_abs_i32 s6, s8
	buffer_store_dword v1, off, s[0:3], 0 offset:388
	v_mov_b32_e32 v1, s30
	s_load_dwordx4 s[52:55], s[4:5], 0x250
	v_cvt_f32_u32_e32 v2, s6
	buffer_store_dword v1, off, s[0:3], 0 offset:384
	v_mov_b32_e32 v1, s29
	buffer_store_dword v1, off, s[0:3], 0 offset:380
	v_mov_b32_e32 v1, s28
	buffer_store_dword v1, off, s[0:3], 0 offset:376
	s_load_dwordx8 s[24:31], s[4:5], 0x1f0
	s_load_dwordx8 s[36:43], s[4:5], 0x210
	;; [unrolled: 1-line block ×3, first 2 shown]
	s_load_dword s9, s[4:5], 0x288
	v_rcp_iflag_f32_e32 v2, v2
	s_waitcnt lgkmcnt(0)
	v_mov_b32_e32 v1, s55
	buffer_store_dword v1, off, s[0:3], 0 offset:564
	v_mov_b32_e32 v1, s54
	buffer_store_dword v1, off, s[0:3], 0 offset:560
	;; [unrolled: 2-line block ×3, first 2 shown]
	v_mov_b32_e32 v1, s52
	v_mul_f32_e32 v2, 0x4f7ffffe, v2
	buffer_store_dword v1, off, s[0:3], 0 offset:552
	v_mov_b32_e32 v1, s51
	v_cvt_u32_f32_e32 v2, v2
	buffer_store_dword v1, off, s[0:3], 0 offset:548
	v_mov_b32_e32 v1, s50
	buffer_store_dword v1, off, s[0:3], 0 offset:544
	v_mov_b32_e32 v1, s49
	;; [unrolled: 2-line block ×4, first 2 shown]
	s_sub_i32 s10, 0, s6
	v_readfirstlane_b32 s11, v2
	buffer_store_dword v1, off, s[0:3], 0 offset:532
	v_mov_b32_e32 v1, s46
	s_mul_i32 s10, s10, s11
	buffer_store_dword v1, off, s[0:3], 0 offset:528
	v_mov_b32_e32 v1, s45
	s_mul_hi_u32 s10, s11, s10
	buffer_store_dword v1, off, s[0:3], 0 offset:524
	v_mov_b32_e32 v1, s44
	s_xor_b32 s8, s9, s8
	s_abs_i32 s9, s9
	s_add_i32 s11, s11, s10
	buffer_store_dword v1, off, s[0:3], 0 offset:520
	v_mov_b32_e32 v1, s43
	s_mul_hi_u32 s10, s9, s11
	buffer_store_dword v1, off, s[0:3], 0 offset:516
	v_mov_b32_e32 v1, s42
	s_mul_i32 s11, s10, s6
	buffer_store_dword v1, off, s[0:3], 0 offset:512
	v_mov_b32_e32 v1, s41
	s_sub_i32 s9, s9, s11
	buffer_store_dword v1, off, s[0:3], 0 offset:508
	v_mov_b32_e32 v1, s40
	s_ashr_i32 s8, s8, 31
	s_add_i32 s11, s10, 1
	s_sub_i32 s13, s9, s6
	buffer_store_dword v1, off, s[0:3], 0 offset:504
	v_mov_b32_e32 v1, s39
	s_cmp_ge_u32 s9, s6
	buffer_store_dword v1, off, s[0:3], 0 offset:500
	v_mov_b32_e32 v1, s38
	s_cselect_b32 s10, s11, s10
	buffer_store_dword v1, off, s[0:3], 0 offset:496
	v_mov_b32_e32 v1, s37
	s_cselect_b32 s9, s13, s9
	s_add_i32 s11, s10, 1
	buffer_store_dword v1, off, s[0:3], 0 offset:492
	v_mov_b32_e32 v1, s36
	s_cmp_ge_u32 s9, s6
	buffer_store_dword v1, off, s[0:3], 0 offset:488
	v_mov_b32_e32 v1, s31
	s_cselect_b32 s6, s11, s10
	buffer_store_dword v1, off, s[0:3], 0 offset:484
	v_mov_b32_e32 v1, s30
	s_xor_b32 s6, s6, s8
	buffer_store_dword v1, off, s[0:3], 0 offset:480
	v_mov_b32_e32 v1, s29
	s_sub_i32 s6, s6, s8
	buffer_store_dword v1, off, s[0:3], 0 offset:476
	v_mov_b32_e32 v1, s28
	s_abs_i32 s8, s6
	buffer_store_dword v1, off, s[0:3], 0 offset:472
	v_mov_b32_e32 v1, s27
	v_cvt_f32_u32_e32 v2, s8
	buffer_store_dword v1, off, s[0:3], 0 offset:468
	v_mov_b32_e32 v1, s26
	buffer_store_dword v1, off, s[0:3], 0 offset:464
	v_mov_b32_e32 v1, s25
	;; [unrolled: 2-line block ×3, first 2 shown]
	buffer_store_dword v1, off, s[0:3], 0 offset:456
	v_rcp_iflag_f32_e32 v1, v2
	s_sub_i32 s11, 0, s8
	s_abs_i32 s10, s12
	s_xor_b32 s6, s12, s6
	v_mul_f32_e32 v1, 0x4f7ffffe, v1
	v_cvt_u32_f32_e32 v1, v1
	s_ashr_i32 s6, s6, 31
	s_load_dwordx8 s[24:31], s[4:5], 0x260
	s_mov_b32 s9, 0
	v_readfirstlane_b32 s13, v1
	s_mul_i32 s11, s11, s13
	s_mul_hi_u32 s11, s13, s11
	s_add_i32 s13, s13, s11
	s_mul_hi_u32 s11, s10, s13
	s_mul_i32 s13, s11, s8
	s_sub_i32 s10, s10, s13
	s_add_i32 s13, s11, 1
	s_sub_i32 s14, s10, s8
	s_cmp_ge_u32 s10, s8
	s_cselect_b32 s11, s13, s11
	s_cselect_b32 s10, s14, s10
	s_add_i32 s13, s11, 1
	s_cmp_ge_u32 s10, s8
	s_cselect_b32 s8, s13, s11
	s_xor_b32 s8, s8, s6
	s_sub_i32 s6, s8, s6
	s_ashr_i32 s13, s6, 31
	s_waitcnt lgkmcnt(0)
	s_mul_i32 s8, s24, s13
	s_mul_hi_u32 s10, s24, s6
	s_add_i32 s8, s10, s8
	s_mul_i32 s10, s25, s6
	s_add_i32 s33, s8, s10
	s_mul_i32 s8, s24, s6
	s_mul_i32 s10, s26, s13
	;; [unrolled: 1-line block ×4, first 2 shown]
	s_mul_hi_u32 s24, s28, s6
	s_mul_hi_u32 s11, s26, s6
	;; [unrolled: 1-line block ×3, first 2 shown]
	s_add_i32 s13, s24, s13
	s_mul_i32 s24, s29, s6
	s_add_i32 s10, s11, s10
	s_mul_i32 s11, s27, s6
	;; [unrolled: 2-line block ×5, first 2 shown]
	s_add_i32 s26, s14, s15
	s_lshl_b64 s[24:25], s[24:25], 2
	s_mul_i32 s14, s30, s6
	s_add_u32 s6, s20, s24
	s_addc_u32 s13, s21, s25
	s_lshl_b32 s21, s33, 2
	s_mov_b32 s20, s9
	s_lshl_b64 s[24:25], s[8:9], 2
	s_or_b64 s[20:21], s[20:21], s[24:25]
	s_mov_b32 s11, s9
	s_add_u32 s20, s16, s20
	s_addc_u32 s21, s17, s21
	s_lshl_b32 s17, s27, 2
	s_mov_b32 s16, s9
	s_lshl_b64 s[10:11], s[10:11], 2
	s_or_b64 s[10:11], s[16:17], s[10:11]
	s_mov_b32 s15, s9
	s_add_u32 s16, s18, s10
	s_addc_u32 s17, s19, s11
	s_lshl_b32 s11, s26, 2
	s_mov_b32 s10, s9
	s_lshl_b64 s[8:9], s[14:15], 2
	s_or_b64 s[8:9], s[10:11], s[8:9]
	s_add_u32 s10, s22, s8
	s_addc_u32 s11, s23, s9
	s_add_u32 s8, s4, 0x288
	s_addc_u32 s9, s5, 0
	v_mov_b32_e32 v31, v0
	v_mov_b32_e32 v0, s20
	;; [unrolled: 1-line block ×19, first 2 shown]
	s_mov_b32 s32, 0x9000
	s_getpc_b64 s[4:5]
	s_add_u32 s4, s4, _ZN2ck32GridwiseGemmDlMultipleD_km_kn_mnILi256EffNS_5TupleIJfEEEfNS_16tensor_operation12element_wise11PassThroughES5_NS4_7AddReluELNS_25InMemoryDataOperationEnumE0ENS_16TensorDescriptorINS1_IJNS_5EmbedINS1_IJiiiEEESA_Lb0EEENS_11PassThroughIiEENS_3PadIiiiLb0EEESD_SD_NS9_INS1_IJiiEEESG_Lb0EEESD_NS_23Merge_v2_magic_divisionISG_EESJ_NS_8RightPadIiiLb0EEESL_NS_7UnMergeISG_Lb0EEESD_EEENS1_IJNS_8SequenceIJLi0EEEENSP_IJLi1EEEENSP_IJLi2EEEENSP_IJLi3EEEENSP_IJLi4EEEENSP_IJLi5EEEENSP_IJLi6EEEENSP_IJLi7ELi9EEEENSP_IJLi8ELi10EEEENSP_IJLi11EEEENSP_IJLi12EEEENSP_IJLi14EEEENSP_IJLi13EEEEEEENS1_IJNSP_IJLi1ELi2ELi3EEEESU_SV_SW_NSP_IJLi7EEEENSP_IJLi8ELi9EEEENSP_IJLi10EEEESZ_S10_S12_S11_NSP_IJLi15ELi16EEEENSP_IJLi17EEEEEEENSP_IJLi15ELi17ELi16EEEElEENS8_INS1_IJSN_SL_SL_SN_SD_EEENS1_IJSQ_SR_SS_SU_ST_EEENS1_IJNSP_IJLi1ELi2EEEEST_SU_NSP_IJLi5ELi6EEEES15_EEENSP_IJLi5ELi7ELi6EEEElEENS8_INS1_IJSH_SL_SL_EEENS1_IJSQ_SR_SS_EEENS1_IJS1F_ST_SU_EEENSP_IJLi3ELi4EEEElEELi128ELi128ELi16ELi1ELi4ELi4ELi1ENSP_IJLi8ELi2EEEES1P_NSP_IJLi8ELi1ELi1ELi1EEEENSP_IJLi2ELi1ELi128ELi1EEEENSP_IJLi1ELi2ELi0ELi3EEEES1S_NSP_IJLi4ELi1ELi1ELi1EEEES1S_NSP_IJLi1ELi1ELi1ELi1EEEES1Q_S1R_S1S_S1S_S1T_S1S_S1U_NSP_IJLi0ELi1ELi2ELi3ELi4ELi5EEEELi5ELi4EE3RunINS1_IJNS8_INS1_IJSH_SL_SL_NSM_INS1_IJiNS_17integral_constantIiLi2EEENS1Y_IiLi64EEEEEELb0EEES22_EEENS1_IJSQ_SR_SS_ST_SU_EEENS1_IJS1F_ST_SU_NSP_IJLi5ELi6ELi7EEEENSP_IJLi8ELi9ELi10EEEEEEENSP_IJLi5ELi6ELi7ELi8ELi9ELi10EEEElEEEEELb1ELb1ENS_31BlockToCTileMap_M00_N00_M01_N01ILi128ELi128ES1O_Lb0EEEEEvPKfS2E_NS1_IJS2E_EEEPfPvRKS5_S2J_RKS6_RKNS8_INS1_IJSB_SD_SF_SD_SD_SH_SD_SJ_SJ_SL_SL_SN_SD_SD_NSM_INS1_IJiNS1Y_IiLi128EEEEEELb0EEENSC_INS1Y_IiLi1EEEEEEEENS1_IJSQ_SR_SS_ST_SU_SV_SW_SX_SY_SZ_S10_S11_S12_NSP_IJLi15EEEES19_NSP_IJLi16EEEEEEENS1_IJS14_SU_SV_SW_S15_S16_S17_SZ_S10_S12_S11_S18_S19_NSP_IJLi18EEEENSP_IJLi19ELi20EEEENSP_IJLi21EEEEEEENSP_IJLi18ELi19ELi20ELi21EEEElEERKNS8_INS1_IJSN_SL_SL_SN_SD_SD_S2O_S2Q_EEENS1_IJSQ_SR_SS_SU_ST_SV_S15_SW_EEENS1_IJS1F_ST_SU_S1G_S15_NSP_IJLi8EEEENSP_IJLi9ELi10EEEESZ_EEENSP_IJLi8ELi9ELi10ELi11EEEElEERKT_RKS29_RKT2_NS1Y_IbXT0_EEENS1Y_IbXT1_EEE@rel32@lo+4
	s_addc_u32 s5, s5, _ZN2ck32GridwiseGemmDlMultipleD_km_kn_mnILi256EffNS_5TupleIJfEEEfNS_16tensor_operation12element_wise11PassThroughES5_NS4_7AddReluELNS_25InMemoryDataOperationEnumE0ENS_16TensorDescriptorINS1_IJNS_5EmbedINS1_IJiiiEEESA_Lb0EEENS_11PassThroughIiEENS_3PadIiiiLb0EEESD_SD_NS9_INS1_IJiiEEESG_Lb0EEESD_NS_23Merge_v2_magic_divisionISG_EESJ_NS_8RightPadIiiLb0EEESL_NS_7UnMergeISG_Lb0EEESD_EEENS1_IJNS_8SequenceIJLi0EEEENSP_IJLi1EEEENSP_IJLi2EEEENSP_IJLi3EEEENSP_IJLi4EEEENSP_IJLi5EEEENSP_IJLi6EEEENSP_IJLi7ELi9EEEENSP_IJLi8ELi10EEEENSP_IJLi11EEEENSP_IJLi12EEEENSP_IJLi14EEEENSP_IJLi13EEEEEEENS1_IJNSP_IJLi1ELi2ELi3EEEESU_SV_SW_NSP_IJLi7EEEENSP_IJLi8ELi9EEEENSP_IJLi10EEEESZ_S10_S12_S11_NSP_IJLi15ELi16EEEENSP_IJLi17EEEEEEENSP_IJLi15ELi17ELi16EEEElEENS8_INS1_IJSN_SL_SL_SN_SD_EEENS1_IJSQ_SR_SS_SU_ST_EEENS1_IJNSP_IJLi1ELi2EEEEST_SU_NSP_IJLi5ELi6EEEES15_EEENSP_IJLi5ELi7ELi6EEEElEENS8_INS1_IJSH_SL_SL_EEENS1_IJSQ_SR_SS_EEENS1_IJS1F_ST_SU_EEENSP_IJLi3ELi4EEEElEELi128ELi128ELi16ELi1ELi4ELi4ELi1ENSP_IJLi8ELi2EEEES1P_NSP_IJLi8ELi1ELi1ELi1EEEENSP_IJLi2ELi1ELi128ELi1EEEENSP_IJLi1ELi2ELi0ELi3EEEES1S_NSP_IJLi4ELi1ELi1ELi1EEEES1S_NSP_IJLi1ELi1ELi1ELi1EEEES1Q_S1R_S1S_S1S_S1T_S1S_S1U_NSP_IJLi0ELi1ELi2ELi3ELi4ELi5EEEELi5ELi4EE3RunINS1_IJNS8_INS1_IJSH_SL_SL_NSM_INS1_IJiNS_17integral_constantIiLi2EEENS1Y_IiLi64EEEEEELb0EEES22_EEENS1_IJSQ_SR_SS_ST_SU_EEENS1_IJS1F_ST_SU_NSP_IJLi5ELi6ELi7EEEENSP_IJLi8ELi9ELi10EEEEEEENSP_IJLi5ELi6ELi7ELi8ELi9ELi10EEEElEEEEELb1ELb1ENS_31BlockToCTileMap_M00_N00_M01_N01ILi128ELi128ES1O_Lb0EEEEEvPKfS2E_NS1_IJS2E_EEEPfPvRKS5_S2J_RKS6_RKNS8_INS1_IJSB_SD_SF_SD_SD_SH_SD_SJ_SJ_SL_SL_SN_SD_SD_NSM_INS1_IJiNS1Y_IiLi128EEEEEELb0EEENSC_INS1Y_IiLi1EEEEEEEENS1_IJSQ_SR_SS_ST_SU_SV_SW_SX_SY_SZ_S10_S11_S12_NSP_IJLi15EEEES19_NSP_IJLi16EEEEEEENS1_IJS14_SU_SV_SW_S15_S16_S17_SZ_S10_S12_S11_S18_S19_NSP_IJLi18EEEENSP_IJLi19ELi20EEEENSP_IJLi21EEEEEEENSP_IJLi18ELi19ELi20ELi21EEEElEERKNS8_INS1_IJSN_SL_SL_SN_SD_SD_S2O_S2Q_EEENS1_IJSQ_SR_SS_SU_ST_SV_S15_SW_EEENS1_IJS1F_ST_SU_S1G_S15_NSP_IJLi8EEEENSP_IJLi9ELi10EEEESZ_EEENSP_IJLi8ELi9ELi10ELi11EEEElEERKT_RKS29_RKT2_NS1Y_IbXT0_EEENS1Y_IbXT1_EEE@rel32@hi+12
	s_swappc_b64 s[30:31], s[4:5]
	s_endpgm
	.section	.rodata,"a",@progbits
	.p2align	6, 0x0
	.amdhsa_kernel _ZN2ck16tensor_operation6device12_GLOBAL__N_137kernel_grouped_conv_fwd_dl_multiple_dINS_32GridwiseGemmDlMultipleD_km_kn_mnILi256EffNS_5TupleIJfEEEfNS0_12element_wise11PassThroughES8_NS7_7AddReluELNS_25InMemoryDataOperationEnumE0ENS_16TensorDescriptorINS5_IJNS_5EmbedINS5_IJiiiEEESD_Lb0EEENS_11PassThroughIiEENS_3PadIiiiLb0EEESG_SG_NSC_INS5_IJiiEEESJ_Lb0EEESG_NS_23Merge_v2_magic_divisionISJ_EESM_NS_8RightPadIiiLb0EEESO_NS_7UnMergeISJ_Lb0EEESG_EEENS5_IJNS_8SequenceIJLi0EEEENSS_IJLi1EEEENSS_IJLi2EEEENSS_IJLi3EEEENSS_IJLi4EEEENSS_IJLi5EEEENSS_IJLi6EEEENSS_IJLi7ELi9EEEENSS_IJLi8ELi10EEEENSS_IJLi11EEEENSS_IJLi12EEEENSS_IJLi14EEEENSS_IJLi13EEEEEEENS5_IJNSS_IJLi1ELi2ELi3EEEESX_SY_SZ_NSS_IJLi7EEEENSS_IJLi8ELi9EEEENSS_IJLi10EEEES12_S13_S15_S14_NSS_IJLi15ELi16EEEENSS_IJLi17EEEEEEENSS_IJLi15ELi17ELi16EEEElEENSB_INS5_IJSQ_SO_SO_SQ_SG_EEENS5_IJST_SU_SV_SX_SW_EEENS5_IJNSS_IJLi1ELi2EEEESW_SX_NSS_IJLi5ELi6EEEES18_EEENSS_IJLi5ELi7ELi6EEEElEENSB_INS5_IJSK_SO_SO_EEENS5_IJST_SU_SV_EEENS5_IJS1I_SW_SX_EEENSS_IJLi3ELi4EEEElEELi128ELi128ELi16ELi1ELi4ELi4ELi1ENSS_IJLi8ELi2EEEES1S_NSS_IJLi8ELi1ELi1ELi1EEEENSS_IJLi2ELi1ELi128ELi1EEEENSS_IJLi1ELi2ELi0ELi3EEEES1V_NSS_IJLi4ELi1ELi1ELi1EEEES1V_NSS_IJLi1ELi1ELi1ELi1EEEES1T_S1U_S1V_S1V_S1W_S1V_S1X_NSS_IJLi0ELi1ELi2ELi3ELi4ELi5EEEELi5ELi4EEEfNS5_IJPKfEEEfS8_S8_S9_NSB_INS5_IJSE_SG_SI_SG_SG_SK_SG_SM_SM_SO_SO_SQ_SG_SG_NSP_INS5_IJiNS_17integral_constantIiLi128EEEEEELb0EEENSF_INS23_IiLi1EEEEEEEENS5_IJST_SU_SV_SW_SX_SY_SZ_S10_S11_S12_S13_S14_S15_NSS_IJLi15EEEES1C_NSS_IJLi16EEEEEEENS5_IJS17_SX_SY_SZ_S18_S19_S1A_S12_S13_S15_S14_S1B_S1C_NSS_IJLi18EEEENSS_IJLi19ELi20EEEENSS_IJLi21EEEEEEENSS_IJLi18ELi19ELi20ELi21EEEElEENSB_INS5_IJSQ_SO_SO_SQ_SG_SG_S26_S28_EEENS5_IJST_SU_SV_SX_SW_SY_S18_SZ_EEENS5_IJS1I_SW_SX_S1J_S18_NSS_IJLi8EEEENSS_IJLi9ELi10EEEES12_EEENSS_IJLi8ELi9ELi10ELi11EEEElEENS5_IJNSB_INS5_IJSK_SO_SO_NSP_INS5_IJiNS23_IiLi2EEENS23_IiLi64EEEEEELb0EEES2T_EEENS5_IJST_SU_SV_SW_SX_EEENS5_IJS1I_SW_SX_NSS_IJLi5ELi6ELi7EEEENSS_IJLi8ELi9ELi10EEEEEEENSS_IJLi5ELi6ELi7ELi8ELi9ELi10EEEElEEEEES30_NS_31BlockToCTileMap_M00_N00_M01_N01ILi128ELi128ES1R_Lb0EEENS1_30ComputePtrOffsetOfStridedBatchILi1ELi1ELi1EvEELb1ELb1EEEvPKT0_S38_T1_PT2_T3_T4_T5_iT6_T7_T8_T9_T10_T11_
		.amdhsa_group_segment_fixed_size 32768
		.amdhsa_private_segment_fixed_size 576
		.amdhsa_kernarg_size 904
		.amdhsa_user_sgpr_count 8
		.amdhsa_user_sgpr_private_segment_buffer 1
		.amdhsa_user_sgpr_dispatch_ptr 0
		.amdhsa_user_sgpr_queue_ptr 0
		.amdhsa_user_sgpr_kernarg_segment_ptr 1
		.amdhsa_user_sgpr_dispatch_id 0
		.amdhsa_user_sgpr_flat_scratch_init 1
		.amdhsa_user_sgpr_kernarg_preload_length 0
		.amdhsa_user_sgpr_kernarg_preload_offset 0
		.amdhsa_user_sgpr_private_segment_size 0
		.amdhsa_uses_dynamic_stack 0
		.amdhsa_system_sgpr_private_segment_wavefront_offset 1
		.amdhsa_system_sgpr_workgroup_id_x 1
		.amdhsa_system_sgpr_workgroup_id_y 0
		.amdhsa_system_sgpr_workgroup_id_z 0
		.amdhsa_system_sgpr_workgroup_info 0
		.amdhsa_system_vgpr_workitem_id 0
		.amdhsa_next_free_vgpr 140
		.amdhsa_next_free_sgpr 56
		.amdhsa_accum_offset 128
		.amdhsa_reserve_vcc 1
		.amdhsa_reserve_flat_scratch 1
		.amdhsa_float_round_mode_32 0
		.amdhsa_float_round_mode_16_64 0
		.amdhsa_float_denorm_mode_32 3
		.amdhsa_float_denorm_mode_16_64 3
		.amdhsa_dx10_clamp 1
		.amdhsa_ieee_mode 1
		.amdhsa_fp16_overflow 0
		.amdhsa_tg_split 0
		.amdhsa_exception_fp_ieee_invalid_op 0
		.amdhsa_exception_fp_denorm_src 0
		.amdhsa_exception_fp_ieee_div_zero 0
		.amdhsa_exception_fp_ieee_overflow 0
		.amdhsa_exception_fp_ieee_underflow 0
		.amdhsa_exception_fp_ieee_inexact 0
		.amdhsa_exception_int_div_zero 0
	.end_amdhsa_kernel
	.section	.text._ZN2ck16tensor_operation6device12_GLOBAL__N_137kernel_grouped_conv_fwd_dl_multiple_dINS_32GridwiseGemmDlMultipleD_km_kn_mnILi256EffNS_5TupleIJfEEEfNS0_12element_wise11PassThroughES8_NS7_7AddReluELNS_25InMemoryDataOperationEnumE0ENS_16TensorDescriptorINS5_IJNS_5EmbedINS5_IJiiiEEESD_Lb0EEENS_11PassThroughIiEENS_3PadIiiiLb0EEESG_SG_NSC_INS5_IJiiEEESJ_Lb0EEESG_NS_23Merge_v2_magic_divisionISJ_EESM_NS_8RightPadIiiLb0EEESO_NS_7UnMergeISJ_Lb0EEESG_EEENS5_IJNS_8SequenceIJLi0EEEENSS_IJLi1EEEENSS_IJLi2EEEENSS_IJLi3EEEENSS_IJLi4EEEENSS_IJLi5EEEENSS_IJLi6EEEENSS_IJLi7ELi9EEEENSS_IJLi8ELi10EEEENSS_IJLi11EEEENSS_IJLi12EEEENSS_IJLi14EEEENSS_IJLi13EEEEEEENS5_IJNSS_IJLi1ELi2ELi3EEEESX_SY_SZ_NSS_IJLi7EEEENSS_IJLi8ELi9EEEENSS_IJLi10EEEES12_S13_S15_S14_NSS_IJLi15ELi16EEEENSS_IJLi17EEEEEEENSS_IJLi15ELi17ELi16EEEElEENSB_INS5_IJSQ_SO_SO_SQ_SG_EEENS5_IJST_SU_SV_SX_SW_EEENS5_IJNSS_IJLi1ELi2EEEESW_SX_NSS_IJLi5ELi6EEEES18_EEENSS_IJLi5ELi7ELi6EEEElEENSB_INS5_IJSK_SO_SO_EEENS5_IJST_SU_SV_EEENS5_IJS1I_SW_SX_EEENSS_IJLi3ELi4EEEElEELi128ELi128ELi16ELi1ELi4ELi4ELi1ENSS_IJLi8ELi2EEEES1S_NSS_IJLi8ELi1ELi1ELi1EEEENSS_IJLi2ELi1ELi128ELi1EEEENSS_IJLi1ELi2ELi0ELi3EEEES1V_NSS_IJLi4ELi1ELi1ELi1EEEES1V_NSS_IJLi1ELi1ELi1ELi1EEEES1T_S1U_S1V_S1V_S1W_S1V_S1X_NSS_IJLi0ELi1ELi2ELi3ELi4ELi5EEEELi5ELi4EEEfNS5_IJPKfEEEfS8_S8_S9_NSB_INS5_IJSE_SG_SI_SG_SG_SK_SG_SM_SM_SO_SO_SQ_SG_SG_NSP_INS5_IJiNS_17integral_constantIiLi128EEEEEELb0EEENSF_INS23_IiLi1EEEEEEEENS5_IJST_SU_SV_SW_SX_SY_SZ_S10_S11_S12_S13_S14_S15_NSS_IJLi15EEEES1C_NSS_IJLi16EEEEEEENS5_IJS17_SX_SY_SZ_S18_S19_S1A_S12_S13_S15_S14_S1B_S1C_NSS_IJLi18EEEENSS_IJLi19ELi20EEEENSS_IJLi21EEEEEEENSS_IJLi18ELi19ELi20ELi21EEEElEENSB_INS5_IJSQ_SO_SO_SQ_SG_SG_S26_S28_EEENS5_IJST_SU_SV_SX_SW_SY_S18_SZ_EEENS5_IJS1I_SW_SX_S1J_S18_NSS_IJLi8EEEENSS_IJLi9ELi10EEEES12_EEENSS_IJLi8ELi9ELi10ELi11EEEElEENS5_IJNSB_INS5_IJSK_SO_SO_NSP_INS5_IJiNS23_IiLi2EEENS23_IiLi64EEEEEELb0EEES2T_EEENS5_IJST_SU_SV_SW_SX_EEENS5_IJS1I_SW_SX_NSS_IJLi5ELi6ELi7EEEENSS_IJLi8ELi9ELi10EEEEEEENSS_IJLi5ELi6ELi7ELi8ELi9ELi10EEEElEEEEES30_NS_31BlockToCTileMap_M00_N00_M01_N01ILi128ELi128ES1R_Lb0EEENS1_30ComputePtrOffsetOfStridedBatchILi1ELi1ELi1EvEELb1ELb1EEEvPKT0_S38_T1_PT2_T3_T4_T5_iT6_T7_T8_T9_T10_T11_,"axG",@progbits,_ZN2ck16tensor_operation6device12_GLOBAL__N_137kernel_grouped_conv_fwd_dl_multiple_dINS_32GridwiseGemmDlMultipleD_km_kn_mnILi256EffNS_5TupleIJfEEEfNS0_12element_wise11PassThroughES8_NS7_7AddReluELNS_25InMemoryDataOperationEnumE0ENS_16TensorDescriptorINS5_IJNS_5EmbedINS5_IJiiiEEESD_Lb0EEENS_11PassThroughIiEENS_3PadIiiiLb0EEESG_SG_NSC_INS5_IJiiEEESJ_Lb0EEESG_NS_23Merge_v2_magic_divisionISJ_EESM_NS_8RightPadIiiLb0EEESO_NS_7UnMergeISJ_Lb0EEESG_EEENS5_IJNS_8SequenceIJLi0EEEENSS_IJLi1EEEENSS_IJLi2EEEENSS_IJLi3EEEENSS_IJLi4EEEENSS_IJLi5EEEENSS_IJLi6EEEENSS_IJLi7ELi9EEEENSS_IJLi8ELi10EEEENSS_IJLi11EEEENSS_IJLi12EEEENSS_IJLi14EEEENSS_IJLi13EEEEEEENS5_IJNSS_IJLi1ELi2ELi3EEEESX_SY_SZ_NSS_IJLi7EEEENSS_IJLi8ELi9EEEENSS_IJLi10EEEES12_S13_S15_S14_NSS_IJLi15ELi16EEEENSS_IJLi17EEEEEEENSS_IJLi15ELi17ELi16EEEElEENSB_INS5_IJSQ_SO_SO_SQ_SG_EEENS5_IJST_SU_SV_SX_SW_EEENS5_IJNSS_IJLi1ELi2EEEESW_SX_NSS_IJLi5ELi6EEEES18_EEENSS_IJLi5ELi7ELi6EEEElEENSB_INS5_IJSK_SO_SO_EEENS5_IJST_SU_SV_EEENS5_IJS1I_SW_SX_EEENSS_IJLi3ELi4EEEElEELi128ELi128ELi16ELi1ELi4ELi4ELi1ENSS_IJLi8ELi2EEEES1S_NSS_IJLi8ELi1ELi1ELi1EEEENSS_IJLi2ELi1ELi128ELi1EEEENSS_IJLi1ELi2ELi0ELi3EEEES1V_NSS_IJLi4ELi1ELi1ELi1EEEES1V_NSS_IJLi1ELi1ELi1ELi1EEEES1T_S1U_S1V_S1V_S1W_S1V_S1X_NSS_IJLi0ELi1ELi2ELi3ELi4ELi5EEEELi5ELi4EEEfNS5_IJPKfEEEfS8_S8_S9_NSB_INS5_IJSE_SG_SI_SG_SG_SK_SG_SM_SM_SO_SO_SQ_SG_SG_NSP_INS5_IJiNS_17integral_constantIiLi128EEEEEELb0EEENSF_INS23_IiLi1EEEEEEEENS5_IJST_SU_SV_SW_SX_SY_SZ_S10_S11_S12_S13_S14_S15_NSS_IJLi15EEEES1C_NSS_IJLi16EEEEEEENS5_IJS17_SX_SY_SZ_S18_S19_S1A_S12_S13_S15_S14_S1B_S1C_NSS_IJLi18EEEENSS_IJLi19ELi20EEEENSS_IJLi21EEEEEEENSS_IJLi18ELi19ELi20ELi21EEEElEENSB_INS5_IJSQ_SO_SO_SQ_SG_SG_S26_S28_EEENS5_IJST_SU_SV_SX_SW_SY_S18_SZ_EEENS5_IJS1I_SW_SX_S1J_S18_NSS_IJLi8EEEENSS_IJLi9ELi10EEEES12_EEENSS_IJLi8ELi9ELi10ELi11EEEElEENS5_IJNSB_INS5_IJSK_SO_SO_NSP_INS5_IJiNS23_IiLi2EEENS23_IiLi64EEEEEELb0EEES2T_EEENS5_IJST_SU_SV_SW_SX_EEENS5_IJS1I_SW_SX_NSS_IJLi5ELi6ELi7EEEENSS_IJLi8ELi9ELi10EEEEEEENSS_IJLi5ELi6ELi7ELi8ELi9ELi10EEEElEEEEES30_NS_31BlockToCTileMap_M00_N00_M01_N01ILi128ELi128ES1R_Lb0EEENS1_30ComputePtrOffsetOfStridedBatchILi1ELi1ELi1EvEELb1ELb1EEEvPKT0_S38_T1_PT2_T3_T4_T5_iT6_T7_T8_T9_T10_T11_,comdat
.Lfunc_end2:
	.size	_ZN2ck16tensor_operation6device12_GLOBAL__N_137kernel_grouped_conv_fwd_dl_multiple_dINS_32GridwiseGemmDlMultipleD_km_kn_mnILi256EffNS_5TupleIJfEEEfNS0_12element_wise11PassThroughES8_NS7_7AddReluELNS_25InMemoryDataOperationEnumE0ENS_16TensorDescriptorINS5_IJNS_5EmbedINS5_IJiiiEEESD_Lb0EEENS_11PassThroughIiEENS_3PadIiiiLb0EEESG_SG_NSC_INS5_IJiiEEESJ_Lb0EEESG_NS_23Merge_v2_magic_divisionISJ_EESM_NS_8RightPadIiiLb0EEESO_NS_7UnMergeISJ_Lb0EEESG_EEENS5_IJNS_8SequenceIJLi0EEEENSS_IJLi1EEEENSS_IJLi2EEEENSS_IJLi3EEEENSS_IJLi4EEEENSS_IJLi5EEEENSS_IJLi6EEEENSS_IJLi7ELi9EEEENSS_IJLi8ELi10EEEENSS_IJLi11EEEENSS_IJLi12EEEENSS_IJLi14EEEENSS_IJLi13EEEEEEENS5_IJNSS_IJLi1ELi2ELi3EEEESX_SY_SZ_NSS_IJLi7EEEENSS_IJLi8ELi9EEEENSS_IJLi10EEEES12_S13_S15_S14_NSS_IJLi15ELi16EEEENSS_IJLi17EEEEEEENSS_IJLi15ELi17ELi16EEEElEENSB_INS5_IJSQ_SO_SO_SQ_SG_EEENS5_IJST_SU_SV_SX_SW_EEENS5_IJNSS_IJLi1ELi2EEEESW_SX_NSS_IJLi5ELi6EEEES18_EEENSS_IJLi5ELi7ELi6EEEElEENSB_INS5_IJSK_SO_SO_EEENS5_IJST_SU_SV_EEENS5_IJS1I_SW_SX_EEENSS_IJLi3ELi4EEEElEELi128ELi128ELi16ELi1ELi4ELi4ELi1ENSS_IJLi8ELi2EEEES1S_NSS_IJLi8ELi1ELi1ELi1EEEENSS_IJLi2ELi1ELi128ELi1EEEENSS_IJLi1ELi2ELi0ELi3EEEES1V_NSS_IJLi4ELi1ELi1ELi1EEEES1V_NSS_IJLi1ELi1ELi1ELi1EEEES1T_S1U_S1V_S1V_S1W_S1V_S1X_NSS_IJLi0ELi1ELi2ELi3ELi4ELi5EEEELi5ELi4EEEfNS5_IJPKfEEEfS8_S8_S9_NSB_INS5_IJSE_SG_SI_SG_SG_SK_SG_SM_SM_SO_SO_SQ_SG_SG_NSP_INS5_IJiNS_17integral_constantIiLi128EEEEEELb0EEENSF_INS23_IiLi1EEEEEEEENS5_IJST_SU_SV_SW_SX_SY_SZ_S10_S11_S12_S13_S14_S15_NSS_IJLi15EEEES1C_NSS_IJLi16EEEEEEENS5_IJS17_SX_SY_SZ_S18_S19_S1A_S12_S13_S15_S14_S1B_S1C_NSS_IJLi18EEEENSS_IJLi19ELi20EEEENSS_IJLi21EEEEEEENSS_IJLi18ELi19ELi20ELi21EEEElEENSB_INS5_IJSQ_SO_SO_SQ_SG_SG_S26_S28_EEENS5_IJST_SU_SV_SX_SW_SY_S18_SZ_EEENS5_IJS1I_SW_SX_S1J_S18_NSS_IJLi8EEEENSS_IJLi9ELi10EEEES12_EEENSS_IJLi8ELi9ELi10ELi11EEEElEENS5_IJNSB_INS5_IJSK_SO_SO_NSP_INS5_IJiNS23_IiLi2EEENS23_IiLi64EEEEEELb0EEES2T_EEENS5_IJST_SU_SV_SW_SX_EEENS5_IJS1I_SW_SX_NSS_IJLi5ELi6ELi7EEEENSS_IJLi8ELi9ELi10EEEEEEENSS_IJLi5ELi6ELi7ELi8ELi9ELi10EEEElEEEEES30_NS_31BlockToCTileMap_M00_N00_M01_N01ILi128ELi128ES1R_Lb0EEENS1_30ComputePtrOffsetOfStridedBatchILi1ELi1ELi1EvEELb1ELb1EEEvPKT0_S38_T1_PT2_T3_T4_T5_iT6_T7_T8_T9_T10_T11_, .Lfunc_end2-_ZN2ck16tensor_operation6device12_GLOBAL__N_137kernel_grouped_conv_fwd_dl_multiple_dINS_32GridwiseGemmDlMultipleD_km_kn_mnILi256EffNS_5TupleIJfEEEfNS0_12element_wise11PassThroughES8_NS7_7AddReluELNS_25InMemoryDataOperationEnumE0ENS_16TensorDescriptorINS5_IJNS_5EmbedINS5_IJiiiEEESD_Lb0EEENS_11PassThroughIiEENS_3PadIiiiLb0EEESG_SG_NSC_INS5_IJiiEEESJ_Lb0EEESG_NS_23Merge_v2_magic_divisionISJ_EESM_NS_8RightPadIiiLb0EEESO_NS_7UnMergeISJ_Lb0EEESG_EEENS5_IJNS_8SequenceIJLi0EEEENSS_IJLi1EEEENSS_IJLi2EEEENSS_IJLi3EEEENSS_IJLi4EEEENSS_IJLi5EEEENSS_IJLi6EEEENSS_IJLi7ELi9EEEENSS_IJLi8ELi10EEEENSS_IJLi11EEEENSS_IJLi12EEEENSS_IJLi14EEEENSS_IJLi13EEEEEEENS5_IJNSS_IJLi1ELi2ELi3EEEESX_SY_SZ_NSS_IJLi7EEEENSS_IJLi8ELi9EEEENSS_IJLi10EEEES12_S13_S15_S14_NSS_IJLi15ELi16EEEENSS_IJLi17EEEEEEENSS_IJLi15ELi17ELi16EEEElEENSB_INS5_IJSQ_SO_SO_SQ_SG_EEENS5_IJST_SU_SV_SX_SW_EEENS5_IJNSS_IJLi1ELi2EEEESW_SX_NSS_IJLi5ELi6EEEES18_EEENSS_IJLi5ELi7ELi6EEEElEENSB_INS5_IJSK_SO_SO_EEENS5_IJST_SU_SV_EEENS5_IJS1I_SW_SX_EEENSS_IJLi3ELi4EEEElEELi128ELi128ELi16ELi1ELi4ELi4ELi1ENSS_IJLi8ELi2EEEES1S_NSS_IJLi8ELi1ELi1ELi1EEEENSS_IJLi2ELi1ELi128ELi1EEEENSS_IJLi1ELi2ELi0ELi3EEEES1V_NSS_IJLi4ELi1ELi1ELi1EEEES1V_NSS_IJLi1ELi1ELi1ELi1EEEES1T_S1U_S1V_S1V_S1W_S1V_S1X_NSS_IJLi0ELi1ELi2ELi3ELi4ELi5EEEELi5ELi4EEEfNS5_IJPKfEEEfS8_S8_S9_NSB_INS5_IJSE_SG_SI_SG_SG_SK_SG_SM_SM_SO_SO_SQ_SG_SG_NSP_INS5_IJiNS_17integral_constantIiLi128EEEEEELb0EEENSF_INS23_IiLi1EEEEEEEENS5_IJST_SU_SV_SW_SX_SY_SZ_S10_S11_S12_S13_S14_S15_NSS_IJLi15EEEES1C_NSS_IJLi16EEEEEEENS5_IJS17_SX_SY_SZ_S18_S19_S1A_S12_S13_S15_S14_S1B_S1C_NSS_IJLi18EEEENSS_IJLi19ELi20EEEENSS_IJLi21EEEEEEENSS_IJLi18ELi19ELi20ELi21EEEElEENSB_INS5_IJSQ_SO_SO_SQ_SG_SG_S26_S28_EEENS5_IJST_SU_SV_SX_SW_SY_S18_SZ_EEENS5_IJS1I_SW_SX_S1J_S18_NSS_IJLi8EEEENSS_IJLi9ELi10EEEES12_EEENSS_IJLi8ELi9ELi10ELi11EEEElEENS5_IJNSB_INS5_IJSK_SO_SO_NSP_INS5_IJiNS23_IiLi2EEENS23_IiLi64EEEEEELb0EEES2T_EEENS5_IJST_SU_SV_SW_SX_EEENS5_IJS1I_SW_SX_NSS_IJLi5ELi6ELi7EEEENSS_IJLi8ELi9ELi10EEEEEEENSS_IJLi5ELi6ELi7ELi8ELi9ELi10EEEElEEEEES30_NS_31BlockToCTileMap_M00_N00_M01_N01ILi128ELi128ES1R_Lb0EEENS1_30ComputePtrOffsetOfStridedBatchILi1ELi1ELi1EvEELb1ELb1EEEvPKT0_S38_T1_PT2_T3_T4_T5_iT6_T7_T8_T9_T10_T11_
                                        ; -- End function
	.section	.AMDGPU.csdata,"",@progbits
; Kernel info:
; codeLenInByte = 2520
; NumSgprs: 62
; NumVgprs: 128
; NumAgprs: 12
; TotalNumVgprs: 140
; ScratchSize: 576
; MemoryBound: 0
; FloatMode: 240
; IeeeMode: 1
; LDSByteSize: 32768 bytes/workgroup (compile time only)
; SGPRBlocks: 7
; VGPRBlocks: 17
; NumSGPRsForWavesPerEU: 62
; NumVGPRsForWavesPerEU: 140
; AccumOffset: 128
; Occupancy: 2
; WaveLimiterHint : 1
; COMPUTE_PGM_RSRC2:SCRATCH_EN: 1
; COMPUTE_PGM_RSRC2:USER_SGPR: 8
; COMPUTE_PGM_RSRC2:TRAP_HANDLER: 0
; COMPUTE_PGM_RSRC2:TGID_X_EN: 1
; COMPUTE_PGM_RSRC2:TGID_Y_EN: 0
; COMPUTE_PGM_RSRC2:TGID_Z_EN: 0
; COMPUTE_PGM_RSRC2:TIDIG_COMP_CNT: 0
; COMPUTE_PGM_RSRC3_GFX90A:ACCUM_OFFSET: 31
; COMPUTE_PGM_RSRC3_GFX90A:TG_SPLIT: 0
	.text
	.p2align	2                               ; -- Begin function _ZN2ck32GridwiseGemmDlMultipleD_km_kn_mnILi256EffNS_5TupleIJfEEEfNS_16tensor_operation12element_wise11PassThroughES5_NS4_7AddReluELNS_25InMemoryDataOperationEnumE0ENS_16TensorDescriptorINS1_IJNS_5EmbedINS1_IJiiiEEESA_Lb0EEENS_11PassThroughIiEENS_3PadIiiiLb0EEESD_SD_NS9_INS1_IJiiEEESG_Lb0EEESD_NS_23Merge_v2_magic_divisionISG_EESJ_NS_8RightPadIiiLb0EEESL_NS_7UnMergeISG_Lb0EEESD_EEENS1_IJNS_8SequenceIJLi0EEEENSP_IJLi1EEEENSP_IJLi2EEEENSP_IJLi3EEEENSP_IJLi4EEEENSP_IJLi5EEEENSP_IJLi6EEEENSP_IJLi7ELi9EEEENSP_IJLi8ELi10EEEENSP_IJLi11EEEENSP_IJLi12EEEENSP_IJLi14EEEENSP_IJLi13EEEEEEENS1_IJNSP_IJLi1ELi2ELi3EEEESU_SV_SW_NSP_IJLi7EEEENSP_IJLi8ELi9EEEENSP_IJLi10EEEESZ_S10_S12_S11_NSP_IJLi15ELi16EEEENSP_IJLi17EEEEEEENSP_IJLi15ELi17ELi16EEEElEENS8_INS1_IJSN_SL_SL_SN_SD_EEENS1_IJSQ_SR_SS_SU_ST_EEENS1_IJNSP_IJLi1ELi2EEEEST_SU_NSP_IJLi5ELi6EEEES15_EEENSP_IJLi5ELi7ELi6EEEElEENS8_INS1_IJSH_SL_SL_EEENS1_IJSQ_SR_SS_EEENS1_IJS1F_ST_SU_EEENSP_IJLi3ELi4EEEElEELi128ELi128ELi16ELi1ELi4ELi4ELi1ENSP_IJLi8ELi2EEEES1P_NSP_IJLi8ELi1ELi1ELi1EEEENSP_IJLi2ELi1ELi128ELi1EEEENSP_IJLi1ELi2ELi0ELi3EEEES1S_NSP_IJLi4ELi1ELi1ELi1EEEES1S_NSP_IJLi1ELi1ELi1ELi1EEEES1Q_S1R_S1S_S1S_S1T_S1S_S1U_NSP_IJLi0ELi1ELi2ELi3ELi4ELi5EEEELi5ELi4EE3RunINS1_IJNS8_INS1_IJSH_SL_SL_NSM_INS1_IJiNS_17integral_constantIiLi2EEENS1Y_IiLi64EEEEEELb0EEES22_EEENS1_IJSQ_SR_SS_ST_SU_EEENS1_IJS1F_ST_SU_NSP_IJLi5ELi6ELi7EEEENSP_IJLi8ELi9ELi10EEEEEEENSP_IJLi5ELi6ELi7ELi8ELi9ELi10EEEElEEEEELb1ELb0ENS_31BlockToCTileMap_M00_N00_M01_N01ILi128ELi128ES1O_Lb0EEEEEvPKfS2E_NS1_IJS2E_EEEPfPvRKS5_S2J_RKS6_RKNS8_INS1_IJSB_SD_SF_SD_SD_SH_SD_SJ_SJ_SL_SL_SN_SD_SD_NSM_INS1_IJiNS1Y_IiLi128EEEEEELb0EEENSC_INS1Y_IiLi1EEEEEEEENS1_IJSQ_SR_SS_ST_SU_SV_SW_SX_SY_SZ_S10_S11_S12_NSP_IJLi15EEEES19_NSP_IJLi16EEEEEEENS1_IJS14_SU_SV_SW_S15_S16_S17_SZ_S10_S12_S11_S18_S19_NSP_IJLi18EEEENSP_IJLi19ELi20EEEENSP_IJLi21EEEEEEENSP_IJLi18ELi19ELi20ELi21EEEElEERKNS8_INS1_IJSN_SL_SL_SN_SD_SD_S2O_S2Q_EEENS1_IJSQ_SR_SS_SU_ST_SV_S15_SW_EEENS1_IJS1F_ST_SU_S1G_S15_NSP_IJLi8EEEENSP_IJLi9ELi10EEEESZ_EEENSP_IJLi8ELi9ELi10ELi11EEEElEERKT_RKS29_RKT2_NS1Y_IbXT0_EEENS1Y_IbXT1_EEE
	.type	_ZN2ck32GridwiseGemmDlMultipleD_km_kn_mnILi256EffNS_5TupleIJfEEEfNS_16tensor_operation12element_wise11PassThroughES5_NS4_7AddReluELNS_25InMemoryDataOperationEnumE0ENS_16TensorDescriptorINS1_IJNS_5EmbedINS1_IJiiiEEESA_Lb0EEENS_11PassThroughIiEENS_3PadIiiiLb0EEESD_SD_NS9_INS1_IJiiEEESG_Lb0EEESD_NS_23Merge_v2_magic_divisionISG_EESJ_NS_8RightPadIiiLb0EEESL_NS_7UnMergeISG_Lb0EEESD_EEENS1_IJNS_8SequenceIJLi0EEEENSP_IJLi1EEEENSP_IJLi2EEEENSP_IJLi3EEEENSP_IJLi4EEEENSP_IJLi5EEEENSP_IJLi6EEEENSP_IJLi7ELi9EEEENSP_IJLi8ELi10EEEENSP_IJLi11EEEENSP_IJLi12EEEENSP_IJLi14EEEENSP_IJLi13EEEEEEENS1_IJNSP_IJLi1ELi2ELi3EEEESU_SV_SW_NSP_IJLi7EEEENSP_IJLi8ELi9EEEENSP_IJLi10EEEESZ_S10_S12_S11_NSP_IJLi15ELi16EEEENSP_IJLi17EEEEEEENSP_IJLi15ELi17ELi16EEEElEENS8_INS1_IJSN_SL_SL_SN_SD_EEENS1_IJSQ_SR_SS_SU_ST_EEENS1_IJNSP_IJLi1ELi2EEEEST_SU_NSP_IJLi5ELi6EEEES15_EEENSP_IJLi5ELi7ELi6EEEElEENS8_INS1_IJSH_SL_SL_EEENS1_IJSQ_SR_SS_EEENS1_IJS1F_ST_SU_EEENSP_IJLi3ELi4EEEElEELi128ELi128ELi16ELi1ELi4ELi4ELi1ENSP_IJLi8ELi2EEEES1P_NSP_IJLi8ELi1ELi1ELi1EEEENSP_IJLi2ELi1ELi128ELi1EEEENSP_IJLi1ELi2ELi0ELi3EEEES1S_NSP_IJLi4ELi1ELi1ELi1EEEES1S_NSP_IJLi1ELi1ELi1ELi1EEEES1Q_S1R_S1S_S1S_S1T_S1S_S1U_NSP_IJLi0ELi1ELi2ELi3ELi4ELi5EEEELi5ELi4EE3RunINS1_IJNS8_INS1_IJSH_SL_SL_NSM_INS1_IJiNS_17integral_constantIiLi2EEENS1Y_IiLi64EEEEEELb0EEES22_EEENS1_IJSQ_SR_SS_ST_SU_EEENS1_IJS1F_ST_SU_NSP_IJLi5ELi6ELi7EEEENSP_IJLi8ELi9ELi10EEEEEEENSP_IJLi5ELi6ELi7ELi8ELi9ELi10EEEElEEEEELb1ELb0ENS_31BlockToCTileMap_M00_N00_M01_N01ILi128ELi128ES1O_Lb0EEEEEvPKfS2E_NS1_IJS2E_EEEPfPvRKS5_S2J_RKS6_RKNS8_INS1_IJSB_SD_SF_SD_SD_SH_SD_SJ_SJ_SL_SL_SN_SD_SD_NSM_INS1_IJiNS1Y_IiLi128EEEEEELb0EEENSC_INS1Y_IiLi1EEEEEEEENS1_IJSQ_SR_SS_ST_SU_SV_SW_SX_SY_SZ_S10_S11_S12_NSP_IJLi15EEEES19_NSP_IJLi16EEEEEEENS1_IJS14_SU_SV_SW_S15_S16_S17_SZ_S10_S12_S11_S18_S19_NSP_IJLi18EEEENSP_IJLi19ELi20EEEENSP_IJLi21EEEEEEENSP_IJLi18ELi19ELi20ELi21EEEElEERKNS8_INS1_IJSN_SL_SL_SN_SD_SD_S2O_S2Q_EEENS1_IJSQ_SR_SS_SU_ST_SV_S15_SW_EEENS1_IJS1F_ST_SU_S1G_S15_NSP_IJLi8EEEENSP_IJLi9ELi10EEEESZ_EEENSP_IJLi8ELi9ELi10ELi11EEEElEERKT_RKS29_RKT2_NS1Y_IbXT0_EEENS1Y_IbXT1_EEE,@function
_ZN2ck32GridwiseGemmDlMultipleD_km_kn_mnILi256EffNS_5TupleIJfEEEfNS_16tensor_operation12element_wise11PassThroughES5_NS4_7AddReluELNS_25InMemoryDataOperationEnumE0ENS_16TensorDescriptorINS1_IJNS_5EmbedINS1_IJiiiEEESA_Lb0EEENS_11PassThroughIiEENS_3PadIiiiLb0EEESD_SD_NS9_INS1_IJiiEEESG_Lb0EEESD_NS_23Merge_v2_magic_divisionISG_EESJ_NS_8RightPadIiiLb0EEESL_NS_7UnMergeISG_Lb0EEESD_EEENS1_IJNS_8SequenceIJLi0EEEENSP_IJLi1EEEENSP_IJLi2EEEENSP_IJLi3EEEENSP_IJLi4EEEENSP_IJLi5EEEENSP_IJLi6EEEENSP_IJLi7ELi9EEEENSP_IJLi8ELi10EEEENSP_IJLi11EEEENSP_IJLi12EEEENSP_IJLi14EEEENSP_IJLi13EEEEEEENS1_IJNSP_IJLi1ELi2ELi3EEEESU_SV_SW_NSP_IJLi7EEEENSP_IJLi8ELi9EEEENSP_IJLi10EEEESZ_S10_S12_S11_NSP_IJLi15ELi16EEEENSP_IJLi17EEEEEEENSP_IJLi15ELi17ELi16EEEElEENS8_INS1_IJSN_SL_SL_SN_SD_EEENS1_IJSQ_SR_SS_SU_ST_EEENS1_IJNSP_IJLi1ELi2EEEEST_SU_NSP_IJLi5ELi6EEEES15_EEENSP_IJLi5ELi7ELi6EEEElEENS8_INS1_IJSH_SL_SL_EEENS1_IJSQ_SR_SS_EEENS1_IJS1F_ST_SU_EEENSP_IJLi3ELi4EEEElEELi128ELi128ELi16ELi1ELi4ELi4ELi1ENSP_IJLi8ELi2EEEES1P_NSP_IJLi8ELi1ELi1ELi1EEEENSP_IJLi2ELi1ELi128ELi1EEEENSP_IJLi1ELi2ELi0ELi3EEEES1S_NSP_IJLi4ELi1ELi1ELi1EEEES1S_NSP_IJLi1ELi1ELi1ELi1EEEES1Q_S1R_S1S_S1S_S1T_S1S_S1U_NSP_IJLi0ELi1ELi2ELi3ELi4ELi5EEEELi5ELi4EE3RunINS1_IJNS8_INS1_IJSH_SL_SL_NSM_INS1_IJiNS_17integral_constantIiLi2EEENS1Y_IiLi64EEEEEELb0EEES22_EEENS1_IJSQ_SR_SS_ST_SU_EEENS1_IJS1F_ST_SU_NSP_IJLi5ELi6ELi7EEEENSP_IJLi8ELi9ELi10EEEEEEENSP_IJLi5ELi6ELi7ELi8ELi9ELi10EEEElEEEEELb1ELb0ENS_31BlockToCTileMap_M00_N00_M01_N01ILi128ELi128ES1O_Lb0EEEEEvPKfS2E_NS1_IJS2E_EEEPfPvRKS5_S2J_RKS6_RKNS8_INS1_IJSB_SD_SF_SD_SD_SH_SD_SJ_SJ_SL_SL_SN_SD_SD_NSM_INS1_IJiNS1Y_IiLi128EEEEEELb0EEENSC_INS1Y_IiLi1EEEEEEEENS1_IJSQ_SR_SS_ST_SU_SV_SW_SX_SY_SZ_S10_S11_S12_NSP_IJLi15EEEES19_NSP_IJLi16EEEEEEENS1_IJS14_SU_SV_SW_S15_S16_S17_SZ_S10_S12_S11_S18_S19_NSP_IJLi18EEEENSP_IJLi19ELi20EEEENSP_IJLi21EEEEEEENSP_IJLi18ELi19ELi20ELi21EEEElEERKNS8_INS1_IJSN_SL_SL_SN_SD_SD_S2O_S2Q_EEENS1_IJSQ_SR_SS_SU_ST_SV_S15_SW_EEENS1_IJS1F_ST_SU_S1G_S15_NSP_IJLi8EEEENSP_IJLi9ELi10EEEESZ_EEENSP_IJLi8ELi9ELi10ELi11EEEElEERKT_RKS29_RKT2_NS1Y_IbXT0_EEENS1Y_IbXT1_EEE: ; @_ZN2ck32GridwiseGemmDlMultipleD_km_kn_mnILi256EffNS_5TupleIJfEEEfNS_16tensor_operation12element_wise11PassThroughES5_NS4_7AddReluELNS_25InMemoryDataOperationEnumE0ENS_16TensorDescriptorINS1_IJNS_5EmbedINS1_IJiiiEEESA_Lb0EEENS_11PassThroughIiEENS_3PadIiiiLb0EEESD_SD_NS9_INS1_IJiiEEESG_Lb0EEESD_NS_23Merge_v2_magic_divisionISG_EESJ_NS_8RightPadIiiLb0EEESL_NS_7UnMergeISG_Lb0EEESD_EEENS1_IJNS_8SequenceIJLi0EEEENSP_IJLi1EEEENSP_IJLi2EEEENSP_IJLi3EEEENSP_IJLi4EEEENSP_IJLi5EEEENSP_IJLi6EEEENSP_IJLi7ELi9EEEENSP_IJLi8ELi10EEEENSP_IJLi11EEEENSP_IJLi12EEEENSP_IJLi14EEEENSP_IJLi13EEEEEEENS1_IJNSP_IJLi1ELi2ELi3EEEESU_SV_SW_NSP_IJLi7EEEENSP_IJLi8ELi9EEEENSP_IJLi10EEEESZ_S10_S12_S11_NSP_IJLi15ELi16EEEENSP_IJLi17EEEEEEENSP_IJLi15ELi17ELi16EEEElEENS8_INS1_IJSN_SL_SL_SN_SD_EEENS1_IJSQ_SR_SS_SU_ST_EEENS1_IJNSP_IJLi1ELi2EEEEST_SU_NSP_IJLi5ELi6EEEES15_EEENSP_IJLi5ELi7ELi6EEEElEENS8_INS1_IJSH_SL_SL_EEENS1_IJSQ_SR_SS_EEENS1_IJS1F_ST_SU_EEENSP_IJLi3ELi4EEEElEELi128ELi128ELi16ELi1ELi4ELi4ELi1ENSP_IJLi8ELi2EEEES1P_NSP_IJLi8ELi1ELi1ELi1EEEENSP_IJLi2ELi1ELi128ELi1EEEENSP_IJLi1ELi2ELi0ELi3EEEES1S_NSP_IJLi4ELi1ELi1ELi1EEEES1S_NSP_IJLi1ELi1ELi1ELi1EEEES1Q_S1R_S1S_S1S_S1T_S1S_S1U_NSP_IJLi0ELi1ELi2ELi3ELi4ELi5EEEELi5ELi4EE3RunINS1_IJNS8_INS1_IJSH_SL_SL_NSM_INS1_IJiNS_17integral_constantIiLi2EEENS1Y_IiLi64EEEEEELb0EEES22_EEENS1_IJSQ_SR_SS_ST_SU_EEENS1_IJS1F_ST_SU_NSP_IJLi5ELi6ELi7EEEENSP_IJLi8ELi9ELi10EEEEEEENSP_IJLi5ELi6ELi7ELi8ELi9ELi10EEEElEEEEELb1ELb0ENS_31BlockToCTileMap_M00_N00_M01_N01ILi128ELi128ES1O_Lb0EEEEEvPKfS2E_NS1_IJS2E_EEEPfPvRKS5_S2J_RKS6_RKNS8_INS1_IJSB_SD_SF_SD_SD_SH_SD_SJ_SJ_SL_SL_SN_SD_SD_NSM_INS1_IJiNS1Y_IiLi128EEEEEELb0EEENSC_INS1Y_IiLi1EEEEEEEENS1_IJSQ_SR_SS_ST_SU_SV_SW_SX_SY_SZ_S10_S11_S12_NSP_IJLi15EEEES19_NSP_IJLi16EEEEEEENS1_IJS14_SU_SV_SW_S15_S16_S17_SZ_S10_S12_S11_S18_S19_NSP_IJLi18EEEENSP_IJLi19ELi20EEEENSP_IJLi21EEEEEEENSP_IJLi18ELi19ELi20ELi21EEEElEERKNS8_INS1_IJSN_SL_SL_SN_SD_SD_S2O_S2Q_EEENS1_IJSQ_SR_SS_SU_ST_SV_S15_SW_EEENS1_IJS1F_ST_SU_S1G_S15_NSP_IJLi8EEEENSP_IJLi9ELi10EEEESZ_EEENSP_IJLi8ELi9ELi10ELi11EEEElEERKT_RKS29_RKT2_NS1Y_IbXT0_EEENS1Y_IbXT1_EEE
; %bb.0:
	s_waitcnt vmcnt(0) expcnt(0) lgkmcnt(0)
	v_accvgpr_write_b32 a4, v12
	v_accvgpr_write_b32 a5, v13
	v_mov_b32_e32 v19, v5
	v_mov_b32_e32 v18, v4
	flat_load_dwordx4 v[20:23], v[16:17] offset:68
	flat_load_dword v4, v[8:9] offset:156
	flat_load_dword v38, v[10:11] offset:48
	;; [unrolled: 1-line block ×5, first 2 shown]
	flat_load_dwordx4 v[50:53], v[16:17] offset:88
	flat_load_dwordx4 v[64:67], v[16:17] offset:48
	flat_load_dword v13, v[8:9] offset:116
	flat_load_dword v54, v[8:9] offset:128
	;; [unrolled: 1-line block ×3, first 2 shown]
	flat_load_dwordx2 v[34:35], v[8:9] offset:56
	flat_load_dwordx3 v[24:26], v[8:9] offset:12
	flat_load_dword v33, v[16:17] offset:36
	flat_load_dword v37, v[16:17] offset:20
                                        ; kill: killed $vgpr16 killed $vgpr17
	flat_load_dword v39, v[10:11] offset:88
	flat_load_dword v55, v[10:11] offset:8
	;; [unrolled: 1-line block ×5, first 2 shown]
	flat_load_dwordx3 v[28:30], v[8:9] offset:28
	flat_load_dwordx2 a[2:3], v[14:15] offset:72
	v_and_b32_e32 v12, 0x3ff, v31
	v_accvgpr_write_b32 a0, v14
	v_lshrrev_b32_e32 v16, 5, v12
	v_lshlrev_b32_e32 v31, 1, v12
	v_accvgpr_write_b32 a1, v15
	v_lshlrev_b32_e32 v14, 3, v12
	v_lshlrev_b32_e32 v32, 6, v16
	v_and_b32_e32 v36, 0x1f8, v31
	v_lshrrev_b32_e32 v17, 1, v12
	v_lshlrev_b32_e32 v12, 2, v12
	v_and_b32_e32 v14, 8, v14
	v_and_b32_e32 v31, 0x1fc, v31
	v_sub_u32_e32 v32, v36, v32
	v_sub_u32_e32 v31, v31, v36
	v_and_or_b32 v92, v12, 4, v32
	v_lshl_add_u32 v91, v16, 3, v31
	v_mov_b32_e32 v79, 0x20000
	s_mov_b32 s20, 0
	s_mov_b64 s[10:11], exec
	s_waitcnt vmcnt(0) lgkmcnt(0)
	v_mul_hi_u32 v23, v23, s12
	v_add_u32_e32 v23, s12, v23
	v_mul_lo_u32 v12, v4, v14
	v_mul_hi_u32 v31, v12, v5
	v_add_u32_e32 v31, v12, v31
	v_mul_lo_u32 v16, v38, v14
	v_lshrrev_b32_e32 v23, v53, v23
	v_mul_hi_u32 v22, v23, v22
	v_add_u32_e32 v49, v23, v22
	v_mul_lo_u32 v32, v23, v67
	v_lshrrev_b32_e32 v31, v13, v31
	v_lshrrev_b32_e32 v52, v52, v49
	v_sub_u32_e32 v22, s12, v32
	v_mul_lo_u32 v32, v31, v71
	v_mul_hi_u32 v21, v52, v21
	v_sub_u32_e32 v49, v12, v32
	v_mul_lo_u32 v32, v52, v66
	v_add_u32_e32 v21, v52, v21
	v_sub_u32_e32 v32, v23, v32
	v_lshrrev_b32_e32 v23, v51, v21
	v_mul_hi_u32 v20, v23, v20
	v_mul_lo_u32 v21, v23, v65
	v_add_u32_e32 v20, v23, v20
	v_sub_u32_e32 v21, v52, v21
	v_lshrrev_b32_e32 v50, v50, v20
	v_mad_u64_u32 v[20:21], s[6:7], v21, v33, v[22:23]
	v_mul_lo_u32 v21, v50, v64
	v_readfirstlane_b32 s18, v20
	v_sub_u32_e32 v20, v23, v21
	v_mad_u64_u32 v[20:21], s[6:7], v20, v37, v[32:33]
	v_lshl_or_b32 v15, s18, 7, v17
	v_readfirstlane_b32 s19, v20
	v_accvgpr_write_b32 a7, v15
	v_mad_u64_u32 v[32:33], s[6:7], v55, v15, v[16:17]
	v_lshl_or_b32 v15, s19, 7, v17
	v_mul_hi_u32 v20, v68, v15
	v_add_u32_e32 v20, v15, v20
	v_lshrrev_b32_e32 v20, v69, v20
	v_mul_lo_u32 v21, v20, v70
	v_mul_lo_u32 v36, v31, v34
	v_sub_u32_e32 v21, v15, v21
	v_mad_u64_u32 v[36:37], s[6:7], v21, v35, v[36:37]
	v_sub_u32_e32 v33, v28, v30
	v_sub_u32_e32 v21, v36, v29
	v_cmp_ge_i32_e64 s[6:7], v36, v29
	v_cmp_gt_i32_e64 s[8:9], v33, v36
	v_cmp_lt_i32_e64 s[4:5], v12, v48
	v_mul_lo_u32 v53, v26, v49
	v_mul_lo_u32 v20, v20, v24
	v_mul_lo_u32 v21, v25, v21
	s_and_b64 s[6:7], s[6:7], s[8:9]
	v_add3_u32 v35, v53, v20, v21
	v_cmp_lt_i32_e32 vcc, v15, v54
	s_and_b64 s[4:5], s[4:5], s[6:7]
	v_accvgpr_write_b32 a8, v15
	s_and_b64 s[4:5], vcc, s[4:5]
	v_lshlrev_b32_e32 v78, 2, v27
	v_lshlrev_b32_e32 v24, 2, v35
.LBB3_1:                                ; =>This Inner Loop Header: Depth=1
	v_readfirstlane_b32 s12, v0
	v_readfirstlane_b32 s13, v1
	;; [unrolled: 1-line block ×4, first 2 shown]
	v_cmp_eq_u64_e64 s[6:7], s[12:13], v[0:1]
	v_cmp_eq_u64_e64 s[8:9], s[14:15], v[78:79]
	s_and_b64 s[6:7], s[6:7], s[8:9]
	s_and_saveexec_b64 s[6:7], s[6:7]
	s_nop 0
	buffer_load_dwordx4 v[20:23], v24, s[12:15], 0 offen
                                        ; implicit-def: $vgpr24
	s_xor_b64 exec, exec, s[6:7]
	s_cbranch_execnz .LBB3_1
; %bb.2:
	s_mov_b64 exec, s[10:11]
	v_lshl_add_u32 v12, v4, 2, v12
	v_mul_hi_u32 v4, v5, v12
	v_add_u32_e32 v4, v12, v4
	v_lshrrev_b32_e32 v4, v13, v4
	v_sub_u32_e32 v13, v4, v31
	s_waitcnt vmcnt(0)
	v_cndmask_b32_e64 v30, 0, v20, s[4:5]
	v_mul_lo_u32 v5, v4, v71
	v_mul_lo_u32 v20, v13, v34
	v_sub_u32_e32 v5, v12, v5
	v_add_u32_e32 v13, v36, v20
	v_sub_u32_e32 v15, v5, v49
	v_cmp_le_i32_e64 s[6:7], v29, v13
	v_cmp_gt_i32_e64 s[8:9], v33, v13
	v_cndmask_b32_e64 v24, 0, v23, s[4:5]
	v_cndmask_b32_e64 v27, 0, v22, s[4:5]
	;; [unrolled: 1-line block ×3, first 2 shown]
	v_mul_lo_u32 v20, v20, v25
	v_mul_lo_u32 v15, v26, v15
	v_cmp_lt_i32_e64 s[4:5], v12, v48
	s_and_b64 s[6:7], s[6:7], s[8:9]
	v_add3_u32 v15, v15, v20, v35
	s_and_b64 s[4:5], s[4:5], s[6:7]
	v_lshlrev_b32_e32 v25, 2, v15
	s_and_b64 vcc, vcc, s[4:5]
	s_mov_b64 s[12:13], exec
.LBB3_3:                                ; =>This Inner Loop Header: Depth=1
	v_readfirstlane_b32 s8, v0
	v_readfirstlane_b32 s9, v1
	;; [unrolled: 1-line block ×4, first 2 shown]
	v_cmp_eq_u64_e64 s[4:5], s[8:9], v[0:1]
	v_cmp_eq_u64_e64 s[6:7], s[10:11], v[78:79]
	s_and_b64 s[4:5], s[4:5], s[6:7]
	s_and_saveexec_b64 s[4:5], s[4:5]
	s_nop 0
	buffer_load_dwordx4 v[20:23], v25, s[8:11], 0 offen
                                        ; implicit-def: $vgpr25
	s_xor_b64 exec, exec, s[4:5]
	s_cbranch_execnz .LBB3_3
; %bb.4:
	s_mov_b64 exec, s[12:13]
	flat_load_dword v37, v[10:11] offset:32
	flat_load_dword v34, v[10:11] offset:20
	s_waitcnt vmcnt(0)
	v_cndmask_b32_e32 v31, 0, v20, vcc
	v_accvgpr_read_b32 v20, a7
	v_cndmask_b32_e32 v25, 0, v23, vcc
	v_cndmask_b32_e32 v26, 0, v22, vcc
	;; [unrolled: 1-line block ×3, first 2 shown]
	v_lshlrev_b32_e32 v88, 2, v39
	v_mov_b32_e32 v89, 0x20000
	v_lshlrev_b32_e32 v33, 2, v32
	s_mov_b64 s[10:11], exec
	s_waitcnt lgkmcnt(0)
	v_cmp_gt_i32_e64 s[4:5], v37, v16
	v_cmp_gt_i32_e32 vcc, v34, v20
	s_and_b64 s[4:5], vcc, s[4:5]
.LBB3_5:                                ; =>This Inner Loop Header: Depth=1
	v_readfirstlane_b32 s12, v2
	v_readfirstlane_b32 s13, v3
	v_readfirstlane_b32 s14, v88
	v_readfirstlane_b32 s15, v89
	v_cmp_eq_u64_e64 s[6:7], s[12:13], v[2:3]
	v_cmp_eq_u64_e64 s[8:9], s[14:15], v[88:89]
	s_and_b64 s[6:7], s[6:7], s[8:9]
	s_and_saveexec_b64 s[6:7], s[6:7]
	s_nop 0
	buffer_load_dwordx4 v[20:23], v33, s[12:15], 0 offen
                                        ; implicit-def: $vgpr33
	s_xor_b64 exec, exec, s[6:7]
	s_cbranch_execnz .LBB3_5
; %bb.6:
	s_mov_b64 exec, s[10:11]
	s_waitcnt vmcnt(0)
	v_cndmask_b32_e64 v36, 0, v20, s[4:5]
	v_lshlrev_b32_e32 v20, 2, v38
	v_add_u32_e32 v90, v20, v16
	v_cndmask_b32_e64 v33, 0, v23, s[4:5]
	v_cndmask_b32_e64 v34, 0, v22, s[4:5]
	;; [unrolled: 1-line block ×3, first 2 shown]
	v_add_u32_e32 v93, v32, v20
	v_cmp_gt_i32_e64 s[4:5], v37, v90
	v_lshlrev_b32_e32 v16, 2, v93
	s_and_b64 vcc, vcc, s[4:5]
	s_mov_b64 s[12:13], exec
.LBB3_7:                                ; =>This Inner Loop Header: Depth=1
	v_readfirstlane_b32 s8, v2
	v_readfirstlane_b32 s9, v3
	;; [unrolled: 1-line block ×4, first 2 shown]
	v_cmp_eq_u64_e64 s[4:5], s[8:9], v[2:3]
	v_cmp_eq_u64_e64 s[6:7], s[10:11], v[88:89]
	s_and_b64 s[4:5], s[4:5], s[6:7]
	s_and_saveexec_b64 s[4:5], s[4:5]
	s_nop 0
	buffer_load_dwordx4 v[20:23], v16, s[8:11], 0 offen
                                        ; implicit-def: $vgpr16
	s_xor_b64 exec, exec, s[4:5]
	s_cbranch_execnz .LBB3_7
; %bb.8:
	s_mov_b64 exec, s[12:13]
	flat_load_dword v32, v[8:9] offset:168
	v_lshlrev_b32_e32 v37, 2, v17
	v_lshl_or_b32 v95, v14, 9, v37
	s_mov_b64 s[16:17], 0
	v_mov_b32_e32 v60, 0
	v_mov_b32_e32 v61, 0
	;; [unrolled: 1-line block ×64, first 2 shown]
	v_accvgpr_write_b32 a6, v91
	v_lshlrev_b32_e32 v91, 2, v91
	v_accvgpr_write_b32 a3, v92
	v_lshlrev_b32_e32 v92, 2, v92
	v_or_b32_e32 v107, 0x6000, v95
	v_mov_b32_e32 v104, v12
	s_waitcnt vmcnt(0)
	v_cndmask_b32_e32 v23, 0, v23, vcc
	v_cndmask_b32_e32 v22, 0, v22, vcc
	;; [unrolled: 1-line block ×4, first 2 shown]
	ds_write2st64_b32 v95, v30, v28 offset1:2
	ds_write2st64_b32 v95, v27, v24 offset0:4 offset1:6
	ds_write2st64_b32 v95, v31, v29 offset0:8 offset1:10
	;; [unrolled: 1-line block ×7, first 2 shown]
	s_waitcnt lgkmcnt(0)
	v_subrev_u32_e32 v14, 32, v32
	v_accvgpr_write_b32 a9, v14
	v_or_b32_e32 v14, 0x4000, v95
	v_accvgpr_write_b32 a10, v14
	v_or_b32_e32 v14, 0x2000, v95
	v_accvgpr_write_b32 a11, v14
.LBB3_9:                                ; =>This Loop Header: Depth=1
                                        ;     Child Loop BB3_10 Depth 2
                                        ;     Child Loop BB3_12 Depth 2
	;; [unrolled: 1-line block ×8, first 2 shown]
	flat_load_dword v27, v[8:9] offset:156
	flat_load_dword v14, v[10:11] offset:48
	;; [unrolled: 1-line block ×3, first 2 shown]
	flat_load_dwordx3 v[24:26], v[8:9] offset:28
	flat_load_dword v33, v[8:9] offset:108
	flat_load_dword v30, v[8:9] offset:140
	;; [unrolled: 1-line block ×5, first 2 shown]
	flat_load_dwordx2 v[28:29], v[8:9] offset:16
	v_accvgpr_read_b32 v23, a8
	s_mov_b64 s[10:11], exec
	s_waitcnt vmcnt(0) lgkmcnt(0)
	v_mul_lo_u32 v21, v27, 12
	v_add_u32_e32 v37, v21, v12
	v_cmp_lt_i32_e32 vcc, v23, v20
	v_add_u32_e32 v36, v21, v104
	v_mul_hi_u32 v12, v37, v33
	v_add_u32_e32 v12, v37, v12
	v_lshrrev_b32_e32 v12, v34, v12
	v_mul_lo_u32 v20, v12, v35
	v_sub_u32_e32 v21, v12, v4
	v_sub_u32_e32 v4, v37, v20
	v_mul_lo_u32 v20, v21, v32
	v_sub_u32_e32 v31, v24, v26
	v_sub_u32_e32 v21, v4, v5
	v_add_u32_e32 v5, v20, v13
	v_cmp_le_i32_e64 s[6:7], v25, v5
	v_cmp_gt_i32_e64 s[8:9], v31, v5
	v_cmp_lt_i32_e64 s[4:5], v36, v30
	v_mul_lo_u32 v13, v20, v28
	v_mul_lo_u32 v20, v21, v29
	s_and_b64 s[6:7], s[6:7], s[8:9]
	v_mul_lo_u32 v22, v14, 12
	v_add3_u32 v13, v13, v15, v20
	s_and_b64 s[4:5], s[4:5], s[6:7]
	v_add_u32_e32 v24, v22, v90
	v_add_u32_e32 v26, v22, v93
	v_lshlrev_b32_e32 v15, 2, v13
	s_and_b64 s[4:5], vcc, s[4:5]
.LBB3_10:                               ;   Parent Loop BB3_9 Depth=1
                                        ; =>  This Inner Loop Header: Depth=2
	v_readfirstlane_b32 s12, v0
	v_readfirstlane_b32 s13, v1
	v_readfirstlane_b32 s14, v78
	v_readfirstlane_b32 s15, v79
	v_cmp_eq_u64_e64 s[6:7], s[12:13], v[0:1]
	v_cmp_eq_u64_e64 s[8:9], s[14:15], v[78:79]
	s_and_b64 s[6:7], s[6:7], s[8:9]
	s_and_saveexec_b64 s[6:7], s[6:7]
	s_nop 0
	buffer_load_dwordx4 v[20:23], v15, s[12:15], 0 offen
                                        ; implicit-def: $vgpr15
	s_xor_b64 exec, exec, s[6:7]
	s_cbranch_execnz .LBB3_10
; %bb.11:                               ;   in Loop: Header=BB3_9 Depth=1
	s_mov_b64 exec, s[10:11]
	v_lshlrev_b32_e32 v15, 2, v27
	v_add_u32_e32 v109, v15, v37
	v_add_u32_e32 v108, v15, v36
	v_mul_hi_u32 v15, v109, v33
	v_add_u32_e32 v15, v109, v15
	v_lshrrev_b32_e32 v38, v34, v15
	v_sub_u32_e32 v12, v38, v12
	v_mul_lo_u32 v15, v38, v35
	v_mul_lo_u32 v12, v12, v32
	v_sub_u32_e32 v39, v109, v15
	v_add_u32_e32 v110, v12, v5
	v_sub_u32_e32 v4, v39, v4
	v_cmp_le_i32_e64 s[6:7], v25, v110
	v_cmp_gt_i32_e64 s[8:9], v31, v110
	s_waitcnt vmcnt(0)
	v_cndmask_b32_e64 v121, 0, v23, s[4:5]
	v_cndmask_b32_e64 v122, 0, v22, s[4:5]
	v_cndmask_b32_e64 v123, 0, v21, s[4:5]
	v_cndmask_b32_e64 v120, 0, v20, s[4:5]
	v_mul_lo_u32 v5, v12, v28
	v_mul_lo_u32 v4, v4, v29
	v_cmp_lt_i32_e64 s[4:5], v108, v30
	s_and_b64 s[6:7], s[6:7], s[8:9]
	v_add3_u32 v111, v5, v13, v4
	s_and_b64 s[4:5], s[4:5], s[6:7]
	v_lshlrev_b32_e32 v4, 2, v111
	s_and_b64 vcc, vcc, s[4:5]
	s_mov_b64 s[12:13], exec
.LBB3_12:                               ;   Parent Loop BB3_9 Depth=1
                                        ; =>  This Inner Loop Header: Depth=2
	v_readfirstlane_b32 s8, v0
	v_readfirstlane_b32 s9, v1
	;; [unrolled: 1-line block ×4, first 2 shown]
	v_cmp_eq_u64_e64 s[4:5], s[8:9], v[0:1]
	v_cmp_eq_u64_e64 s[6:7], s[10:11], v[78:79]
	s_and_b64 s[4:5], s[4:5], s[6:7]
	s_and_saveexec_b64 s[4:5], s[4:5]
	s_nop 0
	buffer_load_dwordx4 v[20:23], v4, s[8:11], 0 offen
                                        ; implicit-def: $vgpr4
	s_xor_b64 exec, exec, s[4:5]
	s_cbranch_execnz .LBB3_12
; %bb.13:                               ;   in Loop: Header=BB3_9 Depth=1
	s_mov_b64 exec, s[12:13]
	flat_load_dword v15, v[10:11] offset:32
	flat_load_dword v12, v[10:11] offset:20
	v_accvgpr_read_b32 v13, a7
	s_waitcnt vmcnt(0)
	v_cndmask_b32_e32 v124, 0, v23, vcc
	v_cndmask_b32_e32 v127, 0, v22, vcc
	;; [unrolled: 1-line block ×4, first 2 shown]
	v_lshlrev_b32_e32 v4, 2, v26
	s_mov_b64 s[10:11], exec
	s_waitcnt lgkmcnt(0)
	v_cmp_gt_i32_e64 s[4:5], v15, v24
	v_cmp_gt_i32_e32 vcc, v12, v13
	s_and_b64 s[4:5], vcc, s[4:5]
.LBB3_14:                               ;   Parent Loop BB3_9 Depth=1
                                        ; =>  This Inner Loop Header: Depth=2
	v_readfirstlane_b32 s12, v2
	v_readfirstlane_b32 s13, v3
	;; [unrolled: 1-line block ×4, first 2 shown]
	v_cmp_eq_u64_e64 s[6:7], s[12:13], v[2:3]
	v_cmp_eq_u64_e64 s[8:9], s[14:15], v[88:89]
	s_and_b64 s[6:7], s[6:7], s[8:9]
	s_and_saveexec_b64 s[6:7], s[6:7]
	s_nop 0
	buffer_load_dwordx4 v[20:23], v4, s[12:15], 0 offen
                                        ; implicit-def: $vgpr4
	s_xor_b64 exec, exec, s[6:7]
	s_cbranch_execnz .LBB3_14
; %bb.15:                               ;   in Loop: Header=BB3_9 Depth=1
	s_mov_b64 exec, s[10:11]
	v_lshlrev_b32_e32 v14, 2, v14
	v_add_u32_e32 v125, v14, v24
	s_waitcnt vmcnt(0)
	v_cndmask_b32_e64 v4, 0, v23, s[4:5]
	v_cndmask_b32_e64 v104, 0, v22, s[4:5]
	;; [unrolled: 1-line block ×4, first 2 shown]
	v_add_u32_e32 v126, v14, v26
	v_cmp_gt_i32_e64 s[4:5], v15, v125
	v_lshlrev_b32_e32 v14, 2, v126
	s_and_b64 vcc, vcc, s[4:5]
	s_mov_b64 s[12:13], exec
.LBB3_16:                               ;   Parent Loop BB3_9 Depth=1
                                        ; =>  This Inner Loop Header: Depth=2
	v_readfirstlane_b32 s8, v2
	v_readfirstlane_b32 s9, v3
	v_readfirstlane_b32 s10, v88
	v_readfirstlane_b32 s11, v89
	v_cmp_eq_u64_e64 s[4:5], s[8:9], v[2:3]
	v_cmp_eq_u64_e64 s[6:7], s[10:11], v[88:89]
	s_and_b64 s[4:5], s[4:5], s[6:7]
	s_and_saveexec_b64 s[4:5], s[4:5]
	s_nop 0
	buffer_load_dwordx4 v[20:23], v14, s[8:11], 0 offen
                                        ; implicit-def: $vgpr14
	s_xor_b64 exec, exec, s[4:5]
	s_cbranch_execnz .LBB3_16
; %bb.17:                               ;   in Loop: Header=BB3_9 Depth=1
	s_mov_b64 exec, s[12:13]
	s_waitcnt lgkmcnt(0)
	s_barrier
	ds_read_b128 v[26:29], v91
	ds_read_b128 v[30:33], v92 offset:16384
	s_waitcnt vmcnt(0)
	v_cndmask_b32_e32 v93, 0, v23, vcc
	v_cndmask_b32_e32 v15, 0, v22, vcc
	ds_read_b128 v[22:25], v92 offset:16640
	ds_read_b128 v[34:37], v91 offset:256
	s_waitcnt lgkmcnt(2)
	;;#ASMSTART
	
             v_fmac_f32 v50, v26, v30 
             
	;;#ASMEND
	;;#ASMSTART
	
             v_fmac_f32 v51, v26, v31 
             
	;;#ASMEND
	;; [unrolled: 5-line block ×16, first 2 shown]
	s_waitcnt lgkmcnt(1)
	;;#ASMSTART
	
             v_fmac_f32 v54, v26, v22 
             
	;;#ASMEND
	;;#ASMSTART
	
             v_fmac_f32 v55, v26, v23 
             
	;;#ASMEND
	;;#ASMSTART
	
             v_fmac_f32 v52, v26, v24 
             
	;;#ASMEND
	;;#ASMSTART
	
             v_fmac_f32 v53, v26, v25 
             
	;;#ASMEND
	;;#ASMSTART
	
             v_fmac_f32 v82, v27, v22 
             
	;;#ASMEND
	;;#ASMSTART
	
             v_fmac_f32 v83, v27, v23 
             
	;;#ASMEND
	;;#ASMSTART
	
             v_fmac_f32 v80, v27, v24 
             
	;;#ASMEND
	;;#ASMSTART
	
             v_fmac_f32 v81, v27, v25 
             
	;;#ASMEND
	;;#ASMSTART
	
             v_fmac_f32 v70, v28, v22 
             
	;;#ASMEND
	;;#ASMSTART
	
             v_fmac_f32 v71, v28, v23 
             
	;;#ASMEND
	;;#ASMSTART
	
             v_fmac_f32 v68, v28, v24 
             
	;;#ASMEND
	;;#ASMSTART
	
             v_fmac_f32 v69, v28, v25 
             
	;;#ASMEND
	;;#ASMSTART
	
             v_fmac_f32 v86, v29, v22 
             
	;;#ASMEND
	;;#ASMSTART
	
             v_fmac_f32 v87, v29, v23 
             
	;;#ASMEND
	;;#ASMSTART
	
             v_fmac_f32 v84, v29, v24 
             
	;;#ASMEND
	;;#ASMSTART
	
             v_fmac_f32 v85, v29, v25 
             
	;;#ASMEND
	ds_read_b128 v[26:29], v91 offset:512
	s_waitcnt lgkmcnt(1)
	;;#ASMSTART
	
             v_fmac_f32 v60, v34, v30 
             
	;;#ASMEND
	;;#ASMSTART
	
             v_fmac_f32 v61, v34, v31 
             
	;;#ASMEND
	;; [unrolled: 5-line block ×16, first 2 shown]
	ds_read_b128 v[30:33], v92 offset:16896
	;;#ASMSTART
	
             v_fmac_f32 v56, v34, v22 
             
	;;#ASMEND
	;;#ASMSTART
	
             v_fmac_f32 v57, v34, v23 
             
	;;#ASMEND
	;; [unrolled: 5-line block ×16, first 2 shown]
	ds_read_b128 v[22:25], v92 offset:17152
	ds_read_b128 v[34:37], v91 offset:768
	s_waitcnt lgkmcnt(2)
	;;#ASMSTART
	
             v_fmac_f32 v50, v26, v30 
             
	;;#ASMEND
	;;#ASMSTART
	
             v_fmac_f32 v51, v26, v31 
             
	;;#ASMEND
	;; [unrolled: 5-line block ×16, first 2 shown]
	s_waitcnt lgkmcnt(1)
	;;#ASMSTART
	
             v_fmac_f32 v54, v26, v22 
             
	;;#ASMEND
	;;#ASMSTART
	
             v_fmac_f32 v55, v26, v23 
             
	;;#ASMEND
	;; [unrolled: 5-line block ×16, first 2 shown]
	ds_read_b128 v[26:29], v91 offset:1024
	s_waitcnt lgkmcnt(1)
	;;#ASMSTART
	
             v_fmac_f32 v60, v34, v30 
             
	;;#ASMEND
	;;#ASMSTART
	
             v_fmac_f32 v61, v34, v31 
             
	;;#ASMEND
	;; [unrolled: 5-line block ×16, first 2 shown]
	ds_read_b128 v[30:33], v92 offset:17408
	;;#ASMSTART
	
             v_fmac_f32 v56, v34, v22 
             
	;;#ASMEND
	;;#ASMSTART
	
             v_fmac_f32 v57, v34, v23 
             
	;;#ASMEND
	;; [unrolled: 5-line block ×16, first 2 shown]
	ds_read_b128 v[22:25], v92 offset:17664
	ds_read_b128 v[34:37], v91 offset:1280
	s_waitcnt lgkmcnt(2)
	;;#ASMSTART
	
             v_fmac_f32 v50, v26, v30 
             
	;;#ASMEND
	;;#ASMSTART
	
             v_fmac_f32 v51, v26, v31 
             
	;;#ASMEND
	;; [unrolled: 5-line block ×16, first 2 shown]
	s_waitcnt lgkmcnt(1)
	;;#ASMSTART
	
             v_fmac_f32 v54, v26, v22 
             
	;;#ASMEND
	;;#ASMSTART
	
             v_fmac_f32 v55, v26, v23 
             
	;;#ASMEND
	;; [unrolled: 5-line block ×16, first 2 shown]
	ds_read_b128 v[26:29], v91 offset:1536
	s_waitcnt lgkmcnt(1)
	;;#ASMSTART
	
             v_fmac_f32 v60, v34, v30 
             
	;;#ASMEND
	;;#ASMSTART
	
             v_fmac_f32 v61, v34, v31 
             
	;;#ASMEND
	;; [unrolled: 5-line block ×16, first 2 shown]
	ds_read_b128 v[30:33], v92 offset:17920
	;;#ASMSTART
	
             v_fmac_f32 v56, v34, v22 
             
	;;#ASMEND
	;;#ASMSTART
	
             v_fmac_f32 v57, v34, v23 
             
	;;#ASMEND
	;; [unrolled: 5-line block ×16, first 2 shown]
	ds_read_b128 v[22:25], v92 offset:18176
	ds_read_b128 v[34:37], v91 offset:1792
	s_waitcnt lgkmcnt(2)
	;;#ASMSTART
	
             v_fmac_f32 v50, v26, v30 
             
	;;#ASMEND
	;;#ASMSTART
	
             v_fmac_f32 v51, v26, v31 
             
	;;#ASMEND
	;; [unrolled: 5-line block ×16, first 2 shown]
	s_waitcnt lgkmcnt(1)
	;;#ASMSTART
	
             v_fmac_f32 v54, v26, v22 
             
	;;#ASMEND
	;;#ASMSTART
	
             v_fmac_f32 v55, v26, v23 
             
	;;#ASMEND
	;; [unrolled: 5-line block ×16, first 2 shown]
	ds_read_b128 v[26:29], v91 offset:2048
	s_waitcnt lgkmcnt(1)
	;;#ASMSTART
	
             v_fmac_f32 v60, v34, v30 
             
	;;#ASMEND
	;;#ASMSTART
	
             v_fmac_f32 v61, v34, v31 
             
	;;#ASMEND
	;; [unrolled: 5-line block ×16, first 2 shown]
	ds_read_b128 v[30:33], v92 offset:18432
	;;#ASMSTART
	
             v_fmac_f32 v56, v34, v22 
             
	;;#ASMEND
	;;#ASMSTART
	
             v_fmac_f32 v57, v34, v23 
             
	;;#ASMEND
	;; [unrolled: 5-line block ×16, first 2 shown]
	ds_read_b128 v[22:25], v92 offset:18688
	ds_read_b128 v[34:37], v91 offset:2304
	s_waitcnt lgkmcnt(2)
	;;#ASMSTART
	
             v_fmac_f32 v50, v26, v30 
             
	;;#ASMEND
	;;#ASMSTART
	
             v_fmac_f32 v51, v26, v31 
             
	;;#ASMEND
	;; [unrolled: 5-line block ×16, first 2 shown]
	s_waitcnt lgkmcnt(1)
	;;#ASMSTART
	
             v_fmac_f32 v54, v26, v22 
             
	;;#ASMEND
	;;#ASMSTART
	
             v_fmac_f32 v55, v26, v23 
             
	;;#ASMEND
	;; [unrolled: 5-line block ×16, first 2 shown]
	ds_read_b128 v[26:29], v91 offset:2560
	s_waitcnt lgkmcnt(1)
	;;#ASMSTART
	
             v_fmac_f32 v60, v34, v30 
             
	;;#ASMEND
	;;#ASMSTART
	
             v_fmac_f32 v61, v34, v31 
             
	;;#ASMEND
	;; [unrolled: 5-line block ×16, first 2 shown]
	ds_read_b128 v[30:33], v92 offset:18944
	;;#ASMSTART
	
             v_fmac_f32 v56, v34, v22 
             
	;;#ASMEND
	;;#ASMSTART
	
             v_fmac_f32 v57, v34, v23 
             
	;;#ASMEND
	;; [unrolled: 5-line block ×16, first 2 shown]
	ds_read_b128 v[22:25], v92 offset:19200
	ds_read_b128 v[34:37], v91 offset:2816
	s_waitcnt lgkmcnt(2)
	;;#ASMSTART
	
             v_fmac_f32 v50, v26, v30 
             
	;;#ASMEND
	;;#ASMSTART
	
             v_fmac_f32 v51, v26, v31 
             
	;;#ASMEND
	;; [unrolled: 5-line block ×16, first 2 shown]
	s_waitcnt lgkmcnt(1)
	;;#ASMSTART
	
             v_fmac_f32 v54, v26, v22 
             
	;;#ASMEND
	;;#ASMSTART
	
             v_fmac_f32 v55, v26, v23 
             
	;;#ASMEND
	;;#ASMSTART
	
             v_fmac_f32 v52, v26, v24 
             
	;;#ASMEND
	;;#ASMSTART
	
             v_fmac_f32 v53, v26, v25 
             
	;;#ASMEND
	;;#ASMSTART
	
             v_fmac_f32 v82, v27, v22 
             
	;;#ASMEND
	;;#ASMSTART
	
             v_fmac_f32 v83, v27, v23 
             
	;;#ASMEND
	;;#ASMSTART
	
             v_fmac_f32 v80, v27, v24 
             
	;;#ASMEND
	;;#ASMSTART
	
             v_fmac_f32 v81, v27, v25 
             
	;;#ASMEND
	;;#ASMSTART
	
             v_fmac_f32 v70, v28, v22 
             
	;;#ASMEND
	;;#ASMSTART
	
             v_fmac_f32 v71, v28, v23 
             
	;;#ASMEND
	;;#ASMSTART
	
             v_fmac_f32 v68, v28, v24 
             
	;;#ASMEND
	;;#ASMSTART
	
             v_fmac_f32 v69, v28, v25 
             
	;;#ASMEND
	;;#ASMSTART
	
             v_fmac_f32 v86, v29, v22 
             
	;;#ASMEND
	;;#ASMSTART
	
             v_fmac_f32 v87, v29, v23 
             
	;;#ASMEND
	;;#ASMSTART
	
             v_fmac_f32 v84, v29, v24 
             
	;;#ASMEND
	;;#ASMSTART
	
             v_fmac_f32 v85, v29, v25 
             
	;;#ASMEND
	ds_read_b128 v[26:29], v91 offset:3072
	s_waitcnt lgkmcnt(1)
	;;#ASMSTART
	
             v_fmac_f32 v60, v34, v30 
             
	;;#ASMEND
	;;#ASMSTART
	
             v_fmac_f32 v61, v34, v31 
             
	;;#ASMEND
	;; [unrolled: 5-line block ×16, first 2 shown]
	ds_read_b128 v[30:33], v92 offset:19456
	;;#ASMSTART
	
             v_fmac_f32 v56, v34, v22 
             
	;;#ASMEND
	;;#ASMSTART
	
             v_fmac_f32 v57, v34, v23 
             
	;;#ASMEND
	;; [unrolled: 5-line block ×16, first 2 shown]
	ds_read_b128 v[22:25], v92 offset:19712
	ds_read_b128 v[34:37], v91 offset:3328
	s_waitcnt lgkmcnt(2)
	;;#ASMSTART
	
             v_fmac_f32 v50, v26, v30 
             
	;;#ASMEND
	;;#ASMSTART
	
             v_fmac_f32 v51, v26, v31 
             
	;;#ASMEND
	;; [unrolled: 5-line block ×16, first 2 shown]
	s_waitcnt lgkmcnt(1)
	;;#ASMSTART
	
             v_fmac_f32 v54, v26, v22 
             
	;;#ASMEND
	;;#ASMSTART
	
             v_fmac_f32 v55, v26, v23 
             
	;;#ASMEND
	;; [unrolled: 5-line block ×16, first 2 shown]
	ds_read_b128 v[26:29], v91 offset:3584
	s_waitcnt lgkmcnt(1)
	;;#ASMSTART
	
             v_fmac_f32 v60, v34, v30 
             
	;;#ASMEND
	;;#ASMSTART
	
             v_fmac_f32 v61, v34, v31 
             
	;;#ASMEND
	;; [unrolled: 5-line block ×16, first 2 shown]
	ds_read_b128 v[30:33], v92 offset:19968
	;;#ASMSTART
	
             v_fmac_f32 v56, v34, v22 
             
	;;#ASMEND
	;;#ASMSTART
	
             v_fmac_f32 v57, v34, v23 
             
	;;#ASMEND
	;; [unrolled: 5-line block ×16, first 2 shown]
	ds_read_b128 v[22:25], v92 offset:20224
	ds_read_b128 v[34:37], v91 offset:3840
	s_waitcnt lgkmcnt(2)
	;;#ASMSTART
	
             v_fmac_f32 v50, v26, v30 
             
	;;#ASMEND
	;;#ASMSTART
	
             v_fmac_f32 v51, v26, v31 
             
	;;#ASMEND
	;; [unrolled: 5-line block ×16, first 2 shown]
	s_waitcnt lgkmcnt(1)
	;;#ASMSTART
	
             v_fmac_f32 v54, v26, v22 
             
	;;#ASMEND
	;;#ASMSTART
	
             v_fmac_f32 v55, v26, v23 
             
	;;#ASMEND
	;;#ASMSTART
	
             v_fmac_f32 v52, v26, v24 
             
	;;#ASMEND
	;;#ASMSTART
	
             v_fmac_f32 v53, v26, v25 
             
	;;#ASMEND
	;;#ASMSTART
	
             v_fmac_f32 v82, v27, v22 
             
	;;#ASMEND
	;;#ASMSTART
	
             v_fmac_f32 v83, v27, v23 
             
	;;#ASMEND
	;;#ASMSTART
	
             v_fmac_f32 v80, v27, v24 
             
	;;#ASMEND
	;;#ASMSTART
	
             v_fmac_f32 v81, v27, v25 
             
	;;#ASMEND
	;;#ASMSTART
	
             v_fmac_f32 v70, v28, v22 
             
	;;#ASMEND
	;;#ASMSTART
	
             v_fmac_f32 v71, v28, v23 
             
	;;#ASMEND
	;;#ASMSTART
	
             v_fmac_f32 v68, v28, v24 
             
	;;#ASMEND
	;;#ASMSTART
	
             v_fmac_f32 v69, v28, v25 
             
	;;#ASMEND
	;;#ASMSTART
	
             v_fmac_f32 v86, v29, v22 
             
	;;#ASMEND
	;;#ASMSTART
	
             v_fmac_f32 v87, v29, v23 
             
	;;#ASMEND
	;;#ASMSTART
	
             v_fmac_f32 v84, v29, v24 
             
	;;#ASMEND
	;;#ASMSTART
	
             v_fmac_f32 v85, v29, v25 
             
	;;#ASMEND
	ds_read_b128 v[26:29], v91 offset:4096
	s_waitcnt lgkmcnt(1)
	;;#ASMSTART
	
             v_fmac_f32 v60, v34, v30 
             
	;;#ASMEND
	;;#ASMSTART
	
             v_fmac_f32 v61, v34, v31 
             
	;;#ASMEND
	;; [unrolled: 5-line block ×16, first 2 shown]
	ds_read_b128 v[30:33], v92 offset:20480
	;;#ASMSTART
	
             v_fmac_f32 v56, v34, v22 
             
	;;#ASMEND
	;;#ASMSTART
	
             v_fmac_f32 v57, v34, v23 
             
	;;#ASMEND
	;;#ASMSTART
	
             v_fmac_f32 v46, v34, v24 
             
	;;#ASMEND
	;;#ASMSTART
	
             v_fmac_f32 v47, v34, v25 
             
	;;#ASMEND
	;;#ASMSTART
	
             v_fmac_f32 v98, v35, v22 
             
	;;#ASMEND
	;;#ASMSTART
	
             v_fmac_f32 v99, v35, v23 
             
	;;#ASMEND
	;;#ASMSTART
	
             v_fmac_f32 v96, v35, v24 
             
	;;#ASMEND
	;;#ASMSTART
	
             v_fmac_f32 v97, v35, v25 
             
	;;#ASMEND
	;;#ASMSTART
	
             v_fmac_f32 v114, v36, v22 
             
	;;#ASMEND
	;;#ASMSTART
	
             v_fmac_f32 v115, v36, v23 
             
	;;#ASMEND
	;;#ASMSTART
	
             v_fmac_f32 v112, v36, v24 
             
	;;#ASMEND
	;;#ASMSTART
	
             v_fmac_f32 v113, v36, v25 
             
	;;#ASMEND
	;;#ASMSTART
	
             v_fmac_f32 v16, v37, v22 
             
	;;#ASMEND
	;;#ASMSTART
	
             v_fmac_f32 v17, v37, v23 
             
	;;#ASMEND
	;;#ASMSTART
	
             v_fmac_f32 v40, v37, v24 
             
	;;#ASMEND
	;;#ASMSTART
	
             v_fmac_f32 v41, v37, v25 
             
	;;#ASMEND
	ds_read_b128 v[22:25], v92 offset:20736
	ds_read_b128 v[34:37], v91 offset:4352
	s_waitcnt lgkmcnt(2)
	;;#ASMSTART
	
             v_fmac_f32 v50, v26, v30 
             
	;;#ASMEND
	;;#ASMSTART
	
             v_fmac_f32 v51, v26, v31 
             
	;;#ASMEND
	;; [unrolled: 5-line block ×16, first 2 shown]
	s_waitcnt lgkmcnt(1)
	;;#ASMSTART
	
             v_fmac_f32 v54, v26, v22 
             
	;;#ASMEND
	;;#ASMSTART
	
             v_fmac_f32 v55, v26, v23 
             
	;;#ASMEND
	;; [unrolled: 5-line block ×16, first 2 shown]
	ds_read_b128 v[26:29], v91 offset:4608
	s_waitcnt lgkmcnt(1)
	;;#ASMSTART
	
             v_fmac_f32 v60, v34, v30 
             
	;;#ASMEND
	;;#ASMSTART
	
             v_fmac_f32 v61, v34, v31 
             
	;;#ASMEND
	;; [unrolled: 5-line block ×16, first 2 shown]
	ds_read_b128 v[30:33], v92 offset:20992
	;;#ASMSTART
	
             v_fmac_f32 v56, v34, v22 
             
	;;#ASMEND
	;;#ASMSTART
	
             v_fmac_f32 v57, v34, v23 
             
	;;#ASMEND
	;; [unrolled: 5-line block ×16, first 2 shown]
	ds_read_b128 v[22:25], v92 offset:21248
	ds_read_b128 v[34:37], v91 offset:4864
	s_waitcnt lgkmcnt(2)
	;;#ASMSTART
	
             v_fmac_f32 v50, v26, v30 
             
	;;#ASMEND
	;;#ASMSTART
	
             v_fmac_f32 v51, v26, v31 
             
	;;#ASMEND
	;; [unrolled: 5-line block ×16, first 2 shown]
	s_waitcnt lgkmcnt(1)
	;;#ASMSTART
	
             v_fmac_f32 v54, v26, v22 
             
	;;#ASMEND
	;;#ASMSTART
	
             v_fmac_f32 v55, v26, v23 
             
	;;#ASMEND
	;; [unrolled: 5-line block ×16, first 2 shown]
	ds_read_b128 v[26:29], v91 offset:5120
	s_waitcnt lgkmcnt(1)
	;;#ASMSTART
	
             v_fmac_f32 v60, v34, v30 
             
	;;#ASMEND
	;;#ASMSTART
	
             v_fmac_f32 v61, v34, v31 
             
	;;#ASMEND
	;; [unrolled: 5-line block ×16, first 2 shown]
	ds_read_b128 v[30:33], v92 offset:21504
	;;#ASMSTART
	
             v_fmac_f32 v56, v34, v22 
             
	;;#ASMEND
	;;#ASMSTART
	
             v_fmac_f32 v57, v34, v23 
             
	;;#ASMEND
	;; [unrolled: 5-line block ×16, first 2 shown]
	ds_read_b128 v[22:25], v92 offset:21760
	ds_read_b128 v[34:37], v91 offset:5376
	s_waitcnt lgkmcnt(2)
	;;#ASMSTART
	
             v_fmac_f32 v50, v26, v30 
             
	;;#ASMEND
	;;#ASMSTART
	
             v_fmac_f32 v51, v26, v31 
             
	;;#ASMEND
	;; [unrolled: 5-line block ×16, first 2 shown]
	s_waitcnt lgkmcnt(1)
	;;#ASMSTART
	
             v_fmac_f32 v54, v26, v22 
             
	;;#ASMEND
	;;#ASMSTART
	
             v_fmac_f32 v55, v26, v23 
             
	;;#ASMEND
	;; [unrolled: 5-line block ×16, first 2 shown]
	ds_read_b128 v[26:29], v91 offset:5632
	s_waitcnt lgkmcnt(1)
	;;#ASMSTART
	
             v_fmac_f32 v60, v34, v30 
             
	;;#ASMEND
	;;#ASMSTART
	
             v_fmac_f32 v61, v34, v31 
             
	;;#ASMEND
	;; [unrolled: 5-line block ×16, first 2 shown]
	ds_read_b128 v[30:33], v92 offset:22016
	;;#ASMSTART
	
             v_fmac_f32 v56, v34, v22 
             
	;;#ASMEND
	;;#ASMSTART
	
             v_fmac_f32 v57, v34, v23 
             
	;;#ASMEND
	;; [unrolled: 5-line block ×16, first 2 shown]
	ds_read_b128 v[22:25], v92 offset:22272
	ds_read_b128 v[34:37], v91 offset:5888
	s_waitcnt lgkmcnt(2)
	;;#ASMSTART
	
             v_fmac_f32 v50, v26, v30 
             
	;;#ASMEND
	;;#ASMSTART
	
             v_fmac_f32 v51, v26, v31 
             
	;;#ASMEND
	;; [unrolled: 5-line block ×16, first 2 shown]
	s_waitcnt lgkmcnt(1)
	;;#ASMSTART
	
             v_fmac_f32 v54, v26, v22 
             
	;;#ASMEND
	;;#ASMSTART
	
             v_fmac_f32 v55, v26, v23 
             
	;;#ASMEND
	;; [unrolled: 5-line block ×16, first 2 shown]
	ds_read_b128 v[26:29], v91 offset:6144
	s_waitcnt lgkmcnt(1)
	;;#ASMSTART
	
             v_fmac_f32 v60, v34, v30 
             
	;;#ASMEND
	;;#ASMSTART
	
             v_fmac_f32 v61, v34, v31 
             
	;;#ASMEND
	;; [unrolled: 5-line block ×16, first 2 shown]
	ds_read_b128 v[30:33], v92 offset:22528
	;;#ASMSTART
	
             v_fmac_f32 v56, v34, v22 
             
	;;#ASMEND
	;;#ASMSTART
	
             v_fmac_f32 v57, v34, v23 
             
	;;#ASMEND
	;;#ASMSTART
	
             v_fmac_f32 v46, v34, v24 
             
	;;#ASMEND
	;;#ASMSTART
	
             v_fmac_f32 v47, v34, v25 
             
	;;#ASMEND
	;;#ASMSTART
	
             v_fmac_f32 v98, v35, v22 
             
	;;#ASMEND
	;;#ASMSTART
	
             v_fmac_f32 v99, v35, v23 
             
	;;#ASMEND
	;;#ASMSTART
	
             v_fmac_f32 v96, v35, v24 
             
	;;#ASMEND
	;;#ASMSTART
	
             v_fmac_f32 v97, v35, v25 
             
	;;#ASMEND
	;;#ASMSTART
	
             v_fmac_f32 v114, v36, v22 
             
	;;#ASMEND
	;;#ASMSTART
	
             v_fmac_f32 v115, v36, v23 
             
	;;#ASMEND
	;;#ASMSTART
	
             v_fmac_f32 v112, v36, v24 
             
	;;#ASMEND
	;;#ASMSTART
	
             v_fmac_f32 v113, v36, v25 
             
	;;#ASMEND
	;;#ASMSTART
	
             v_fmac_f32 v16, v37, v22 
             
	;;#ASMEND
	;;#ASMSTART
	
             v_fmac_f32 v17, v37, v23 
             
	;;#ASMEND
	;;#ASMSTART
	
             v_fmac_f32 v40, v37, v24 
             
	;;#ASMEND
	;;#ASMSTART
	
             v_fmac_f32 v41, v37, v25 
             
	;;#ASMEND
	ds_read_b128 v[22:25], v92 offset:22784
	ds_read_b128 v[34:37], v91 offset:6400
	s_waitcnt lgkmcnt(2)
	;;#ASMSTART
	
             v_fmac_f32 v50, v26, v30 
             
	;;#ASMEND
	;;#ASMSTART
	
             v_fmac_f32 v51, v26, v31 
             
	;;#ASMEND
	;; [unrolled: 5-line block ×16, first 2 shown]
	s_waitcnt lgkmcnt(1)
	;;#ASMSTART
	
             v_fmac_f32 v54, v26, v22 
             
	;;#ASMEND
	;;#ASMSTART
	
             v_fmac_f32 v55, v26, v23 
             
	;;#ASMEND
	;; [unrolled: 5-line block ×16, first 2 shown]
	ds_read_b128 v[26:29], v91 offset:6656
	s_waitcnt lgkmcnt(1)
	;;#ASMSTART
	
             v_fmac_f32 v60, v34, v30 
             
	;;#ASMEND
	;;#ASMSTART
	
             v_fmac_f32 v61, v34, v31 
             
	;;#ASMEND
	;; [unrolled: 5-line block ×16, first 2 shown]
	ds_read_b128 v[30:33], v92 offset:23040
	;;#ASMSTART
	
             v_fmac_f32 v56, v34, v22 
             
	;;#ASMEND
	;;#ASMSTART
	
             v_fmac_f32 v57, v34, v23 
             
	;;#ASMEND
	;; [unrolled: 5-line block ×16, first 2 shown]
	ds_read_b128 v[22:25], v92 offset:23296
	ds_read_b128 v[34:37], v91 offset:6912
	s_waitcnt lgkmcnt(2)
	;;#ASMSTART
	
             v_fmac_f32 v50, v26, v30 
             
	;;#ASMEND
	;;#ASMSTART
	
             v_fmac_f32 v51, v26, v31 
             
	;;#ASMEND
	;;#ASMSTART
	
             v_fmac_f32 v48, v26, v32 
             
	;;#ASMEND
	;;#ASMSTART
	
             v_fmac_f32 v49, v26, v33 
             
	;;#ASMEND
	;;#ASMSTART
	
             v_fmac_f32 v76, v27, v30 
             
	;;#ASMEND
	;;#ASMSTART
	
             v_fmac_f32 v77, v27, v31 
             
	;;#ASMEND
	;;#ASMSTART
	
             v_fmac_f32 v74, v27, v32 
             
	;;#ASMEND
	;;#ASMSTART
	
             v_fmac_f32 v75, v27, v33 
             
	;;#ASMEND
	;;#ASMSTART
	
             v_fmac_f32 v66, v28, v30 
             
	;;#ASMEND
	;;#ASMSTART
	
             v_fmac_f32 v67, v28, v31 
             
	;;#ASMEND
	;;#ASMSTART
	
             v_fmac_f32 v64, v28, v32 
             
	;;#ASMEND
	;;#ASMSTART
	
             v_fmac_f32 v65, v28, v33 
             
	;;#ASMEND
	;;#ASMSTART
	
             v_fmac_f32 v72, v29, v30 
             
	;;#ASMEND
	;;#ASMSTART
	
             v_fmac_f32 v73, v29, v31 
             
	;;#ASMEND
	;;#ASMSTART
	
             v_fmac_f32 v62, v29, v32 
             
	;;#ASMEND
	;;#ASMSTART
	
             v_fmac_f32 v63, v29, v33 
             
	;;#ASMEND
	s_waitcnt lgkmcnt(1)
	;;#ASMSTART
	
             v_fmac_f32 v54, v26, v22 
             
	;;#ASMEND
	;;#ASMSTART
	
             v_fmac_f32 v55, v26, v23 
             
	;;#ASMEND
	;; [unrolled: 5-line block ×16, first 2 shown]
	ds_read_b128 v[26:29], v91 offset:7168
	s_waitcnt lgkmcnt(1)
	;;#ASMSTART
	
             v_fmac_f32 v60, v34, v30 
             
	;;#ASMEND
	;;#ASMSTART
	
             v_fmac_f32 v61, v34, v31 
             
	;;#ASMEND
	;; [unrolled: 5-line block ×16, first 2 shown]
	ds_read_b128 v[30:33], v92 offset:23552
	;;#ASMSTART
	
             v_fmac_f32 v56, v34, v22 
             
	;;#ASMEND
	;;#ASMSTART
	
             v_fmac_f32 v57, v34, v23 
             
	;;#ASMEND
	;;#ASMSTART
	
             v_fmac_f32 v46, v34, v24 
             
	;;#ASMEND
	;;#ASMSTART
	
             v_fmac_f32 v47, v34, v25 
             
	;;#ASMEND
	;;#ASMSTART
	
             v_fmac_f32 v98, v35, v22 
             
	;;#ASMEND
	;;#ASMSTART
	
             v_fmac_f32 v99, v35, v23 
             
	;;#ASMEND
	;;#ASMSTART
	
             v_fmac_f32 v96, v35, v24 
             
	;;#ASMEND
	;;#ASMSTART
	
             v_fmac_f32 v97, v35, v25 
             
	;;#ASMEND
	;;#ASMSTART
	
             v_fmac_f32 v114, v36, v22 
             
	;;#ASMEND
	;;#ASMSTART
	
             v_fmac_f32 v115, v36, v23 
             
	;;#ASMEND
	;;#ASMSTART
	
             v_fmac_f32 v112, v36, v24 
             
	;;#ASMEND
	;;#ASMSTART
	
             v_fmac_f32 v113, v36, v25 
             
	;;#ASMEND
	;;#ASMSTART
	
             v_fmac_f32 v16, v37, v22 
             
	;;#ASMEND
	;;#ASMSTART
	
             v_fmac_f32 v17, v37, v23 
             
	;;#ASMEND
	;;#ASMSTART
	
             v_fmac_f32 v40, v37, v24 
             
	;;#ASMEND
	;;#ASMSTART
	
             v_fmac_f32 v41, v37, v25 
             
	;;#ASMEND
	ds_read_b128 v[22:25], v92 offset:23808
	ds_read_b128 v[34:37], v91 offset:7424
	s_waitcnt lgkmcnt(2)
	;;#ASMSTART
	
             v_fmac_f32 v50, v26, v30 
             
	;;#ASMEND
	;;#ASMSTART
	
             v_fmac_f32 v51, v26, v31 
             
	;;#ASMEND
	;; [unrolled: 5-line block ×16, first 2 shown]
	s_waitcnt lgkmcnt(1)
	;;#ASMSTART
	
             v_fmac_f32 v54, v26, v22 
             
	;;#ASMEND
	;;#ASMSTART
	
             v_fmac_f32 v55, v26, v23 
             
	;;#ASMEND
	;; [unrolled: 5-line block ×16, first 2 shown]
	ds_read_b128 v[26:29], v91 offset:7680
	s_waitcnt lgkmcnt(1)
	;;#ASMSTART
	
             v_fmac_f32 v60, v34, v30 
             
	;;#ASMEND
	;;#ASMSTART
	
             v_fmac_f32 v61, v34, v31 
             
	;;#ASMEND
	;; [unrolled: 5-line block ×16, first 2 shown]
	ds_read_b128 v[30:33], v92 offset:24064
	;;#ASMSTART
	
             v_fmac_f32 v56, v34, v22 
             
	;;#ASMEND
	;;#ASMSTART
	
             v_fmac_f32 v57, v34, v23 
             
	;;#ASMEND
	;; [unrolled: 5-line block ×16, first 2 shown]
	ds_read_b128 v[22:25], v92 offset:24320
	ds_read_b128 v[34:37], v91 offset:7936
	s_waitcnt lgkmcnt(2)
	;;#ASMSTART
	
             v_fmac_f32 v50, v26, v30 
             
	;;#ASMEND
	;;#ASMSTART
	
             v_fmac_f32 v51, v26, v31 
             
	;;#ASMEND
	;; [unrolled: 5-line block ×16, first 2 shown]
	s_waitcnt lgkmcnt(1)
	;;#ASMSTART
	
             v_fmac_f32 v54, v26, v22 
             
	;;#ASMEND
	;;#ASMSTART
	
             v_fmac_f32 v55, v26, v23 
             
	;;#ASMEND
	;; [unrolled: 5-line block ×16, first 2 shown]
	s_waitcnt lgkmcnt(0)
	;;#ASMSTART
	
             v_fmac_f32 v60, v34, v30 
             
	;;#ASMEND
	;;#ASMSTART
	
             v_fmac_f32 v61, v34, v31 
             
	;;#ASMEND
	;; [unrolled: 5-line block ×32, first 2 shown]
	flat_load_dword v31, v[8:9] offset:156
	flat_load_dword v32, v[8:9] offset:108
	v_cndmask_b32_e32 v14, 0, v20, vcc
	v_accvgpr_read_b32 v20, a11
	ds_write2st64_b32 v20, v123, v122 offset0:2 offset1:4
	flat_load_dword v33, v[8:9] offset:116
	flat_load_dword v34, v[8:9] offset:100
	ds_write2st64_b32 v20, v121, v90 offset0:6 offset1:8
	ds_write2st64_b32 v20, v5, v127 offset0:10 offset1:12
	ds_write_b32 v20, v124 offset:3584
	v_cndmask_b32_e32 v21, 0, v21, vcc
	flat_load_dword v35, v[8:9] offset:56
	flat_load_dwordx2 v[28:29], v[8:9] offset:16
	ds_write2st64_b32 v95, v120, v12 offset0:32 offset1:96
	ds_write2st64_b32 v107, v13, v104 offset0:2 offset1:4
	;; [unrolled: 1-line block ×3, first 2 shown]
	flat_load_dword v14, v[10:11] offset:48
	ds_write2st64_b32 v107, v21, v15 offset0:10 offset1:12
	ds_write_b32 v107, v93 offset:3584
	flat_load_dword v36, v[8:9] offset:140
	flat_load_dword v12, v[8:9] offset:128
	flat_load_dwordx3 v[24:26], v[8:9] offset:28
	s_mov_b64 s[10:11], exec
	s_waitcnt vmcnt(0) lgkmcnt(0)
	v_mul_lo_u32 v5, v31, 12
	v_add_u32_e32 v4, v5, v108
	v_add_u32_e32 v5, v5, v109
	v_mul_hi_u32 v13, v5, v32
	v_add_u32_e32 v13, v5, v13
	v_lshrrev_b32_e32 v13, v33, v13
	v_mul_lo_u32 v15, v13, v34
	v_sub_u32_e32 v15, v5, v15
	v_sub_u32_e32 v21, v13, v38
	;; [unrolled: 1-line block ×3, first 2 shown]
	v_mul_lo_u32 v21, v21, v35
	v_add_u32_e32 v37, v21, v110
	v_mul_lo_u32 v21, v21, v28
	v_mul_lo_u32 v20, v20, v29
	v_sub_u32_e32 v24, v24, v26
	v_add3_u32 v38, v21, v111, v20
	v_mul_lo_u32 v20, v14, 12
	v_cmp_le_i32_e64 s[6:7], v25, v37
	v_cmp_gt_i32_e64 s[8:9], v24, v37
	v_add_u32_e32 v27, v20, v125
	v_add_u32_e32 v30, v20, v126
	v_cmp_lt_i32_e64 s[4:5], v4, v36
	v_accvgpr_read_b32 v20, a8
	s_and_b64 s[6:7], s[6:7], s[8:9]
	v_cmp_lt_i32_e32 vcc, v20, v12
	s_and_b64 s[4:5], s[4:5], s[6:7]
	s_and_b64 s[4:5], vcc, s[4:5]
	v_lshlrev_b32_e32 v12, 2, v38
.LBB3_18:                               ;   Parent Loop BB3_9 Depth=1
                                        ; =>  This Inner Loop Header: Depth=2
	v_readfirstlane_b32 s12, v0
	v_readfirstlane_b32 s13, v1
	;; [unrolled: 1-line block ×4, first 2 shown]
	v_cmp_eq_u64_e64 s[6:7], s[12:13], v[0:1]
	v_cmp_eq_u64_e64 s[8:9], s[14:15], v[78:79]
	s_and_b64 s[6:7], s[6:7], s[8:9]
	s_and_saveexec_b64 s[6:7], s[6:7]
	s_nop 0
	buffer_load_dwordx4 v[20:23], v12, s[12:15], 0 offen
                                        ; implicit-def: $vgpr12
	s_xor_b64 exec, exec, s[6:7]
	s_cbranch_execnz .LBB3_18
; %bb.19:                               ;   in Loop: Header=BB3_9 Depth=1
	s_mov_b64 exec, s[10:11]
	v_lshlrev_b32_e32 v12, 2, v31
	v_add_u32_e32 v104, v12, v4
	v_add_u32_e32 v12, v12, v5
	v_mul_hi_u32 v4, v12, v32
	v_add_u32_e32 v4, v12, v4
	v_lshrrev_b32_e32 v4, v33, v4
	v_sub_u32_e32 v13, v4, v13
	s_waitcnt vmcnt(0)
	v_cndmask_b32_e64 v111, 0, v20, s[4:5]
	v_mul_lo_u32 v5, v4, v34
	v_mul_lo_u32 v20, v13, v35
	v_sub_u32_e32 v5, v12, v5
	v_add_u32_e32 v13, v20, v37
	v_sub_u32_e32 v15, v5, v15
	v_cmp_le_i32_e64 s[6:7], v25, v13
	v_cmp_gt_i32_e64 s[8:9], v24, v13
	v_cndmask_b32_e64 v108, 0, v23, s[4:5]
	v_cndmask_b32_e64 v109, 0, v22, s[4:5]
	;; [unrolled: 1-line block ×3, first 2 shown]
	v_mul_lo_u32 v20, v20, v28
	v_mul_lo_u32 v15, v15, v29
	v_cmp_lt_i32_e64 s[4:5], v104, v36
	s_and_b64 s[6:7], s[6:7], s[8:9]
	v_add3_u32 v15, v20, v38, v15
	s_and_b64 s[4:5], s[4:5], s[6:7]
	v_lshlrev_b32_e32 v26, 2, v15
	s_and_b64 vcc, vcc, s[4:5]
	s_mov_b64 s[12:13], exec
.LBB3_20:                               ;   Parent Loop BB3_9 Depth=1
                                        ; =>  This Inner Loop Header: Depth=2
	v_readfirstlane_b32 s8, v0
	v_readfirstlane_b32 s9, v1
	;; [unrolled: 1-line block ×4, first 2 shown]
	v_cmp_eq_u64_e64 s[4:5], s[8:9], v[0:1]
	v_cmp_eq_u64_e64 s[6:7], s[10:11], v[78:79]
	s_and_b64 s[4:5], s[4:5], s[6:7]
	s_and_saveexec_b64 s[4:5], s[4:5]
	s_nop 0
	buffer_load_dwordx4 v[20:23], v26, s[8:11], 0 offen
                                        ; implicit-def: $vgpr26
	s_xor_b64 exec, exec, s[4:5]
	s_cbranch_execnz .LBB3_20
; %bb.21:                               ;   in Loop: Header=BB3_9 Depth=1
	s_mov_b64 exec, s[12:13]
	flat_load_dword v24, v[10:11] offset:32
	flat_load_dword v26, v[10:11] offset:20
	s_waitcnt vmcnt(0)
	v_cndmask_b32_e32 v123, 0, v20, vcc
	v_accvgpr_read_b32 v20, a7
	v_cndmask_b32_e32 v120, 0, v23, vcc
	v_cndmask_b32_e32 v121, 0, v22, vcc
	;; [unrolled: 1-line block ×3, first 2 shown]
	v_lshlrev_b32_e32 v25, 2, v30
	s_mov_b64 s[10:11], exec
	s_waitcnt lgkmcnt(0)
	v_cmp_gt_i32_e64 s[4:5], v24, v27
	v_cmp_gt_i32_e32 vcc, v26, v20
	s_and_b64 s[4:5], vcc, s[4:5]
.LBB3_22:                               ;   Parent Loop BB3_9 Depth=1
                                        ; =>  This Inner Loop Header: Depth=2
	v_readfirstlane_b32 s12, v2
	v_readfirstlane_b32 s13, v3
	;; [unrolled: 1-line block ×4, first 2 shown]
	v_cmp_eq_u64_e64 s[6:7], s[12:13], v[2:3]
	v_cmp_eq_u64_e64 s[8:9], s[14:15], v[88:89]
	s_and_b64 s[6:7], s[6:7], s[8:9]
	s_and_saveexec_b64 s[6:7], s[6:7]
	s_nop 0
	buffer_load_dwordx4 v[20:23], v25, s[12:15], 0 offen
                                        ; implicit-def: $vgpr25
	s_xor_b64 exec, exec, s[6:7]
	s_cbranch_execnz .LBB3_22
; %bb.23:                               ;   in Loop: Header=BB3_9 Depth=1
	s_mov_b64 exec, s[10:11]
	v_lshlrev_b32_e32 v14, 2, v14
	v_add_u32_e32 v90, v14, v27
	s_waitcnt vmcnt(0)
	v_cndmask_b32_e64 v124, 0, v23, s[4:5]
	v_cndmask_b32_e64 v125, 0, v22, s[4:5]
	;; [unrolled: 1-line block ×4, first 2 shown]
	v_add_u32_e32 v93, v14, v30
	v_cmp_gt_i32_e64 s[4:5], v24, v90
	v_lshlrev_b32_e32 v14, 2, v93
	s_and_b64 vcc, vcc, s[4:5]
	s_mov_b64 s[12:13], exec
.LBB3_24:                               ;   Parent Loop BB3_9 Depth=1
                                        ; =>  This Inner Loop Header: Depth=2
	v_readfirstlane_b32 s8, v2
	v_readfirstlane_b32 s9, v3
	;; [unrolled: 1-line block ×4, first 2 shown]
	v_cmp_eq_u64_e64 s[4:5], s[8:9], v[2:3]
	v_cmp_eq_u64_e64 s[6:7], s[10:11], v[88:89]
	s_and_b64 s[4:5], s[4:5], s[6:7]
	s_and_saveexec_b64 s[4:5], s[4:5]
	s_nop 0
	buffer_load_dwordx4 v[20:23], v14, s[8:11], 0 offen
                                        ; implicit-def: $vgpr14
	s_xor_b64 exec, exec, s[4:5]
	s_cbranch_execnz .LBB3_24
; %bb.25:                               ;   in Loop: Header=BB3_9 Depth=1
	s_mov_b64 exec, s[12:13]
	s_waitcnt vmcnt(0)
	v_cndmask_b32_e32 v14, 0, v23, vcc
	v_cndmask_b32_e32 v94, 0, v22, vcc
	s_waitcnt lgkmcnt(0)
	s_barrier
	ds_read_b128 v[24:27], v91 offset:8192
	ds_read_b128 v[28:31], v92 offset:24576
	v_cndmask_b32_e32 v105, 0, v21, vcc
	v_cndmask_b32_e32 v106, 0, v20, vcc
	ds_read_b128 v[20:23], v92 offset:24832
	ds_read_b128 v[32:35], v91 offset:8448
	s_waitcnt lgkmcnt(2)
	;;#ASMSTART
	
             v_fmac_f32 v50, v24, v28 
             
	;;#ASMEND
	;;#ASMSTART
	
             v_fmac_f32 v51, v24, v29 
             
	;;#ASMEND
	;; [unrolled: 5-line block ×16, first 2 shown]
	s_waitcnt lgkmcnt(1)
	;;#ASMSTART
	
             v_fmac_f32 v54, v24, v20 
             
	;;#ASMEND
	;;#ASMSTART
	
             v_fmac_f32 v55, v24, v21 
             
	;;#ASMEND
	;; [unrolled: 5-line block ×16, first 2 shown]
	ds_read_b128 v[24:27], v91 offset:8704
	s_waitcnt lgkmcnt(1)
	;;#ASMSTART
	
             v_fmac_f32 v60, v32, v28 
             
	;;#ASMEND
	;;#ASMSTART
	
             v_fmac_f32 v61, v32, v29 
             
	;;#ASMEND
	;; [unrolled: 5-line block ×16, first 2 shown]
	ds_read_b128 v[28:31], v92 offset:25088
	;;#ASMSTART
	
             v_fmac_f32 v56, v32, v20 
             
	;;#ASMEND
	;;#ASMSTART
	
             v_fmac_f32 v57, v32, v21 
             
	;;#ASMEND
	;; [unrolled: 5-line block ×16, first 2 shown]
	ds_read_b128 v[20:23], v92 offset:25344
	ds_read_b128 v[32:35], v91 offset:8960
	s_waitcnt lgkmcnt(2)
	;;#ASMSTART
	
             v_fmac_f32 v50, v24, v28 
             
	;;#ASMEND
	;;#ASMSTART
	
             v_fmac_f32 v51, v24, v29 
             
	;;#ASMEND
	;; [unrolled: 5-line block ×16, first 2 shown]
	s_waitcnt lgkmcnt(1)
	;;#ASMSTART
	
             v_fmac_f32 v54, v24, v20 
             
	;;#ASMEND
	;;#ASMSTART
	
             v_fmac_f32 v55, v24, v21 
             
	;;#ASMEND
	;;#ASMSTART
	
             v_fmac_f32 v52, v24, v22 
             
	;;#ASMEND
	;;#ASMSTART
	
             v_fmac_f32 v53, v24, v23 
             
	;;#ASMEND
	;;#ASMSTART
	
             v_fmac_f32 v82, v25, v20 
             
	;;#ASMEND
	;;#ASMSTART
	
             v_fmac_f32 v83, v25, v21 
             
	;;#ASMEND
	;;#ASMSTART
	
             v_fmac_f32 v80, v25, v22 
             
	;;#ASMEND
	;;#ASMSTART
	
             v_fmac_f32 v81, v25, v23 
             
	;;#ASMEND
	;;#ASMSTART
	
             v_fmac_f32 v70, v26, v20 
             
	;;#ASMEND
	;;#ASMSTART
	
             v_fmac_f32 v71, v26, v21 
             
	;;#ASMEND
	;;#ASMSTART
	
             v_fmac_f32 v68, v26, v22 
             
	;;#ASMEND
	;;#ASMSTART
	
             v_fmac_f32 v69, v26, v23 
             
	;;#ASMEND
	;;#ASMSTART
	
             v_fmac_f32 v86, v27, v20 
             
	;;#ASMEND
	;;#ASMSTART
	
             v_fmac_f32 v87, v27, v21 
             
	;;#ASMEND
	;;#ASMSTART
	
             v_fmac_f32 v84, v27, v22 
             
	;;#ASMEND
	;;#ASMSTART
	
             v_fmac_f32 v85, v27, v23 
             
	;;#ASMEND
	ds_read_b128 v[24:27], v91 offset:9216
	s_waitcnt lgkmcnt(1)
	;;#ASMSTART
	
             v_fmac_f32 v60, v32, v28 
             
	;;#ASMEND
	;;#ASMSTART
	
             v_fmac_f32 v61, v32, v29 
             
	;;#ASMEND
	;; [unrolled: 5-line block ×16, first 2 shown]
	ds_read_b128 v[28:31], v92 offset:25600
	;;#ASMSTART
	
             v_fmac_f32 v56, v32, v20 
             
	;;#ASMEND
	;;#ASMSTART
	
             v_fmac_f32 v57, v32, v21 
             
	;;#ASMEND
	;; [unrolled: 5-line block ×16, first 2 shown]
	ds_read_b128 v[20:23], v92 offset:25856
	ds_read_b128 v[32:35], v91 offset:9472
	s_waitcnt lgkmcnt(2)
	;;#ASMSTART
	
             v_fmac_f32 v50, v24, v28 
             
	;;#ASMEND
	;;#ASMSTART
	
             v_fmac_f32 v51, v24, v29 
             
	;;#ASMEND
	;; [unrolled: 5-line block ×16, first 2 shown]
	s_waitcnt lgkmcnt(1)
	;;#ASMSTART
	
             v_fmac_f32 v54, v24, v20 
             
	;;#ASMEND
	;;#ASMSTART
	
             v_fmac_f32 v55, v24, v21 
             
	;;#ASMEND
	;; [unrolled: 5-line block ×16, first 2 shown]
	ds_read_b128 v[24:27], v91 offset:9728
	s_waitcnt lgkmcnt(1)
	;;#ASMSTART
	
             v_fmac_f32 v60, v32, v28 
             
	;;#ASMEND
	;;#ASMSTART
	
             v_fmac_f32 v61, v32, v29 
             
	;;#ASMEND
	;; [unrolled: 5-line block ×16, first 2 shown]
	ds_read_b128 v[28:31], v92 offset:26112
	;;#ASMSTART
	
             v_fmac_f32 v56, v32, v20 
             
	;;#ASMEND
	;;#ASMSTART
	
             v_fmac_f32 v57, v32, v21 
             
	;;#ASMEND
	;; [unrolled: 5-line block ×16, first 2 shown]
	ds_read_b128 v[20:23], v92 offset:26368
	ds_read_b128 v[32:35], v91 offset:9984
	s_waitcnt lgkmcnt(2)
	;;#ASMSTART
	
             v_fmac_f32 v50, v24, v28 
             
	;;#ASMEND
	;;#ASMSTART
	
             v_fmac_f32 v51, v24, v29 
             
	;;#ASMEND
	;; [unrolled: 5-line block ×16, first 2 shown]
	s_waitcnt lgkmcnt(1)
	;;#ASMSTART
	
             v_fmac_f32 v54, v24, v20 
             
	;;#ASMEND
	;;#ASMSTART
	
             v_fmac_f32 v55, v24, v21 
             
	;;#ASMEND
	;;#ASMSTART
	
             v_fmac_f32 v52, v24, v22 
             
	;;#ASMEND
	;;#ASMSTART
	
             v_fmac_f32 v53, v24, v23 
             
	;;#ASMEND
	;;#ASMSTART
	
             v_fmac_f32 v82, v25, v20 
             
	;;#ASMEND
	;;#ASMSTART
	
             v_fmac_f32 v83, v25, v21 
             
	;;#ASMEND
	;;#ASMSTART
	
             v_fmac_f32 v80, v25, v22 
             
	;;#ASMEND
	;;#ASMSTART
	
             v_fmac_f32 v81, v25, v23 
             
	;;#ASMEND
	;;#ASMSTART
	
             v_fmac_f32 v70, v26, v20 
             
	;;#ASMEND
	;;#ASMSTART
	
             v_fmac_f32 v71, v26, v21 
             
	;;#ASMEND
	;;#ASMSTART
	
             v_fmac_f32 v68, v26, v22 
             
	;;#ASMEND
	;;#ASMSTART
	
             v_fmac_f32 v69, v26, v23 
             
	;;#ASMEND
	;;#ASMSTART
	
             v_fmac_f32 v86, v27, v20 
             
	;;#ASMEND
	;;#ASMSTART
	
             v_fmac_f32 v87, v27, v21 
             
	;;#ASMEND
	;;#ASMSTART
	
             v_fmac_f32 v84, v27, v22 
             
	;;#ASMEND
	;;#ASMSTART
	
             v_fmac_f32 v85, v27, v23 
             
	;;#ASMEND
	ds_read_b128 v[24:27], v91 offset:10240
	s_waitcnt lgkmcnt(1)
	;;#ASMSTART
	
             v_fmac_f32 v60, v32, v28 
             
	;;#ASMEND
	;;#ASMSTART
	
             v_fmac_f32 v61, v32, v29 
             
	;;#ASMEND
	;; [unrolled: 5-line block ×16, first 2 shown]
	ds_read_b128 v[28:31], v92 offset:26624
	;;#ASMSTART
	
             v_fmac_f32 v56, v32, v20 
             
	;;#ASMEND
	;;#ASMSTART
	
             v_fmac_f32 v57, v32, v21 
             
	;;#ASMEND
	;; [unrolled: 5-line block ×16, first 2 shown]
	ds_read_b128 v[20:23], v92 offset:26880
	ds_read_b128 v[32:35], v91 offset:10496
	s_waitcnt lgkmcnt(2)
	;;#ASMSTART
	
             v_fmac_f32 v50, v24, v28 
             
	;;#ASMEND
	;;#ASMSTART
	
             v_fmac_f32 v51, v24, v29 
             
	;;#ASMEND
	;; [unrolled: 5-line block ×16, first 2 shown]
	s_waitcnt lgkmcnt(1)
	;;#ASMSTART
	
             v_fmac_f32 v54, v24, v20 
             
	;;#ASMEND
	;;#ASMSTART
	
             v_fmac_f32 v55, v24, v21 
             
	;;#ASMEND
	;;#ASMSTART
	
             v_fmac_f32 v52, v24, v22 
             
	;;#ASMEND
	;;#ASMSTART
	
             v_fmac_f32 v53, v24, v23 
             
	;;#ASMEND
	;;#ASMSTART
	
             v_fmac_f32 v82, v25, v20 
             
	;;#ASMEND
	;;#ASMSTART
	
             v_fmac_f32 v83, v25, v21 
             
	;;#ASMEND
	;;#ASMSTART
	
             v_fmac_f32 v80, v25, v22 
             
	;;#ASMEND
	;;#ASMSTART
	
             v_fmac_f32 v81, v25, v23 
             
	;;#ASMEND
	;;#ASMSTART
	
             v_fmac_f32 v70, v26, v20 
             
	;;#ASMEND
	;;#ASMSTART
	
             v_fmac_f32 v71, v26, v21 
             
	;;#ASMEND
	;;#ASMSTART
	
             v_fmac_f32 v68, v26, v22 
             
	;;#ASMEND
	;;#ASMSTART
	
             v_fmac_f32 v69, v26, v23 
             
	;;#ASMEND
	;;#ASMSTART
	
             v_fmac_f32 v86, v27, v20 
             
	;;#ASMEND
	;;#ASMSTART
	
             v_fmac_f32 v87, v27, v21 
             
	;;#ASMEND
	;;#ASMSTART
	
             v_fmac_f32 v84, v27, v22 
             
	;;#ASMEND
	;;#ASMSTART
	
             v_fmac_f32 v85, v27, v23 
             
	;;#ASMEND
	ds_read_b128 v[24:27], v91 offset:10752
	s_waitcnt lgkmcnt(1)
	;;#ASMSTART
	
             v_fmac_f32 v60, v32, v28 
             
	;;#ASMEND
	;;#ASMSTART
	
             v_fmac_f32 v61, v32, v29 
             
	;;#ASMEND
	;; [unrolled: 5-line block ×16, first 2 shown]
	ds_read_b128 v[28:31], v92 offset:27136
	;;#ASMSTART
	
             v_fmac_f32 v56, v32, v20 
             
	;;#ASMEND
	;;#ASMSTART
	
             v_fmac_f32 v57, v32, v21 
             
	;;#ASMEND
	;; [unrolled: 5-line block ×16, first 2 shown]
	ds_read_b128 v[20:23], v92 offset:27392
	ds_read_b128 v[32:35], v91 offset:11008
	s_waitcnt lgkmcnt(2)
	;;#ASMSTART
	
             v_fmac_f32 v50, v24, v28 
             
	;;#ASMEND
	;;#ASMSTART
	
             v_fmac_f32 v51, v24, v29 
             
	;;#ASMEND
	;; [unrolled: 5-line block ×16, first 2 shown]
	s_waitcnt lgkmcnt(1)
	;;#ASMSTART
	
             v_fmac_f32 v54, v24, v20 
             
	;;#ASMEND
	;;#ASMSTART
	
             v_fmac_f32 v55, v24, v21 
             
	;;#ASMEND
	;; [unrolled: 5-line block ×16, first 2 shown]
	ds_read_b128 v[24:27], v91 offset:11264
	s_waitcnt lgkmcnt(1)
	;;#ASMSTART
	
             v_fmac_f32 v60, v32, v28 
             
	;;#ASMEND
	;;#ASMSTART
	
             v_fmac_f32 v61, v32, v29 
             
	;;#ASMEND
	;; [unrolled: 5-line block ×16, first 2 shown]
	ds_read_b128 v[28:31], v92 offset:27648
	;;#ASMSTART
	
             v_fmac_f32 v56, v32, v20 
             
	;;#ASMEND
	;;#ASMSTART
	
             v_fmac_f32 v57, v32, v21 
             
	;;#ASMEND
	;; [unrolled: 5-line block ×16, first 2 shown]
	ds_read_b128 v[20:23], v92 offset:27904
	ds_read_b128 v[32:35], v91 offset:11520
	s_waitcnt lgkmcnt(2)
	;;#ASMSTART
	
             v_fmac_f32 v50, v24, v28 
             
	;;#ASMEND
	;;#ASMSTART
	
             v_fmac_f32 v51, v24, v29 
             
	;;#ASMEND
	;; [unrolled: 5-line block ×16, first 2 shown]
	s_waitcnt lgkmcnt(1)
	;;#ASMSTART
	
             v_fmac_f32 v54, v24, v20 
             
	;;#ASMEND
	;;#ASMSTART
	
             v_fmac_f32 v55, v24, v21 
             
	;;#ASMEND
	;; [unrolled: 5-line block ×16, first 2 shown]
	ds_read_b128 v[24:27], v91 offset:11776
	s_waitcnt lgkmcnt(1)
	;;#ASMSTART
	
             v_fmac_f32 v60, v32, v28 
             
	;;#ASMEND
	;;#ASMSTART
	
             v_fmac_f32 v61, v32, v29 
             
	;;#ASMEND
	;; [unrolled: 5-line block ×16, first 2 shown]
	ds_read_b128 v[28:31], v92 offset:28160
	;;#ASMSTART
	
             v_fmac_f32 v56, v32, v20 
             
	;;#ASMEND
	;;#ASMSTART
	
             v_fmac_f32 v57, v32, v21 
             
	;;#ASMEND
	;;#ASMSTART
	
             v_fmac_f32 v46, v32, v22 
             
	;;#ASMEND
	;;#ASMSTART
	
             v_fmac_f32 v47, v32, v23 
             
	;;#ASMEND
	;;#ASMSTART
	
             v_fmac_f32 v98, v33, v20 
             
	;;#ASMEND
	;;#ASMSTART
	
             v_fmac_f32 v99, v33, v21 
             
	;;#ASMEND
	;;#ASMSTART
	
             v_fmac_f32 v96, v33, v22 
             
	;;#ASMEND
	;;#ASMSTART
	
             v_fmac_f32 v97, v33, v23 
             
	;;#ASMEND
	;;#ASMSTART
	
             v_fmac_f32 v114, v34, v20 
             
	;;#ASMEND
	;;#ASMSTART
	
             v_fmac_f32 v115, v34, v21 
             
	;;#ASMEND
	;;#ASMSTART
	
             v_fmac_f32 v112, v34, v22 
             
	;;#ASMEND
	;;#ASMSTART
	
             v_fmac_f32 v113, v34, v23 
             
	;;#ASMEND
	;;#ASMSTART
	
             v_fmac_f32 v16, v35, v20 
             
	;;#ASMEND
	;;#ASMSTART
	
             v_fmac_f32 v17, v35, v21 
             
	;;#ASMEND
	;;#ASMSTART
	
             v_fmac_f32 v40, v35, v22 
             
	;;#ASMEND
	;;#ASMSTART
	
             v_fmac_f32 v41, v35, v23 
             
	;;#ASMEND
	ds_read_b128 v[20:23], v92 offset:28416
	ds_read_b128 v[32:35], v91 offset:12032
	s_waitcnt lgkmcnt(2)
	;;#ASMSTART
	
             v_fmac_f32 v50, v24, v28 
             
	;;#ASMEND
	;;#ASMSTART
	
             v_fmac_f32 v51, v24, v29 
             
	;;#ASMEND
	;; [unrolled: 5-line block ×16, first 2 shown]
	s_waitcnt lgkmcnt(1)
	;;#ASMSTART
	
             v_fmac_f32 v54, v24, v20 
             
	;;#ASMEND
	;;#ASMSTART
	
             v_fmac_f32 v55, v24, v21 
             
	;;#ASMEND
	;;#ASMSTART
	
             v_fmac_f32 v52, v24, v22 
             
	;;#ASMEND
	;;#ASMSTART
	
             v_fmac_f32 v53, v24, v23 
             
	;;#ASMEND
	;;#ASMSTART
	
             v_fmac_f32 v82, v25, v20 
             
	;;#ASMEND
	;;#ASMSTART
	
             v_fmac_f32 v83, v25, v21 
             
	;;#ASMEND
	;;#ASMSTART
	
             v_fmac_f32 v80, v25, v22 
             
	;;#ASMEND
	;;#ASMSTART
	
             v_fmac_f32 v81, v25, v23 
             
	;;#ASMEND
	;;#ASMSTART
	
             v_fmac_f32 v70, v26, v20 
             
	;;#ASMEND
	;;#ASMSTART
	
             v_fmac_f32 v71, v26, v21 
             
	;;#ASMEND
	;;#ASMSTART
	
             v_fmac_f32 v68, v26, v22 
             
	;;#ASMEND
	;;#ASMSTART
	
             v_fmac_f32 v69, v26, v23 
             
	;;#ASMEND
	;;#ASMSTART
	
             v_fmac_f32 v86, v27, v20 
             
	;;#ASMEND
	;;#ASMSTART
	
             v_fmac_f32 v87, v27, v21 
             
	;;#ASMEND
	;;#ASMSTART
	
             v_fmac_f32 v84, v27, v22 
             
	;;#ASMEND
	;;#ASMSTART
	
             v_fmac_f32 v85, v27, v23 
             
	;;#ASMEND
	ds_read_b128 v[24:27], v91 offset:12288
	s_waitcnt lgkmcnt(1)
	;;#ASMSTART
	
             v_fmac_f32 v60, v32, v28 
             
	;;#ASMEND
	;;#ASMSTART
	
             v_fmac_f32 v61, v32, v29 
             
	;;#ASMEND
	;; [unrolled: 5-line block ×16, first 2 shown]
	ds_read_b128 v[28:31], v92 offset:28672
	;;#ASMSTART
	
             v_fmac_f32 v56, v32, v20 
             
	;;#ASMEND
	;;#ASMSTART
	
             v_fmac_f32 v57, v32, v21 
             
	;;#ASMEND
	;; [unrolled: 5-line block ×16, first 2 shown]
	ds_read_b128 v[20:23], v92 offset:28928
	ds_read_b128 v[32:35], v91 offset:12544
	s_waitcnt lgkmcnt(2)
	;;#ASMSTART
	
             v_fmac_f32 v50, v24, v28 
             
	;;#ASMEND
	;;#ASMSTART
	
             v_fmac_f32 v51, v24, v29 
             
	;;#ASMEND
	;; [unrolled: 5-line block ×16, first 2 shown]
	s_waitcnt lgkmcnt(1)
	;;#ASMSTART
	
             v_fmac_f32 v54, v24, v20 
             
	;;#ASMEND
	;;#ASMSTART
	
             v_fmac_f32 v55, v24, v21 
             
	;;#ASMEND
	;;#ASMSTART
	
             v_fmac_f32 v52, v24, v22 
             
	;;#ASMEND
	;;#ASMSTART
	
             v_fmac_f32 v53, v24, v23 
             
	;;#ASMEND
	;;#ASMSTART
	
             v_fmac_f32 v82, v25, v20 
             
	;;#ASMEND
	;;#ASMSTART
	
             v_fmac_f32 v83, v25, v21 
             
	;;#ASMEND
	;;#ASMSTART
	
             v_fmac_f32 v80, v25, v22 
             
	;;#ASMEND
	;;#ASMSTART
	
             v_fmac_f32 v81, v25, v23 
             
	;;#ASMEND
	;;#ASMSTART
	
             v_fmac_f32 v70, v26, v20 
             
	;;#ASMEND
	;;#ASMSTART
	
             v_fmac_f32 v71, v26, v21 
             
	;;#ASMEND
	;;#ASMSTART
	
             v_fmac_f32 v68, v26, v22 
             
	;;#ASMEND
	;;#ASMSTART
	
             v_fmac_f32 v69, v26, v23 
             
	;;#ASMEND
	;;#ASMSTART
	
             v_fmac_f32 v86, v27, v20 
             
	;;#ASMEND
	;;#ASMSTART
	
             v_fmac_f32 v87, v27, v21 
             
	;;#ASMEND
	;;#ASMSTART
	
             v_fmac_f32 v84, v27, v22 
             
	;;#ASMEND
	;;#ASMSTART
	
             v_fmac_f32 v85, v27, v23 
             
	;;#ASMEND
	ds_read_b128 v[24:27], v91 offset:12800
	s_waitcnt lgkmcnt(1)
	;;#ASMSTART
	
             v_fmac_f32 v60, v32, v28 
             
	;;#ASMEND
	;;#ASMSTART
	
             v_fmac_f32 v61, v32, v29 
             
	;;#ASMEND
	;; [unrolled: 5-line block ×16, first 2 shown]
	ds_read_b128 v[28:31], v92 offset:29184
	;;#ASMSTART
	
             v_fmac_f32 v56, v32, v20 
             
	;;#ASMEND
	;;#ASMSTART
	
             v_fmac_f32 v57, v32, v21 
             
	;;#ASMEND
	;; [unrolled: 5-line block ×16, first 2 shown]
	ds_read_b128 v[20:23], v92 offset:29440
	ds_read_b128 v[32:35], v91 offset:13056
	s_waitcnt lgkmcnt(2)
	;;#ASMSTART
	
             v_fmac_f32 v50, v24, v28 
             
	;;#ASMEND
	;;#ASMSTART
	
             v_fmac_f32 v51, v24, v29 
             
	;;#ASMEND
	;; [unrolled: 5-line block ×16, first 2 shown]
	s_waitcnt lgkmcnt(1)
	;;#ASMSTART
	
             v_fmac_f32 v54, v24, v20 
             
	;;#ASMEND
	;;#ASMSTART
	
             v_fmac_f32 v55, v24, v21 
             
	;;#ASMEND
	;; [unrolled: 5-line block ×16, first 2 shown]
	ds_read_b128 v[24:27], v91 offset:13312
	s_waitcnt lgkmcnt(1)
	;;#ASMSTART
	
             v_fmac_f32 v60, v32, v28 
             
	;;#ASMEND
	;;#ASMSTART
	
             v_fmac_f32 v61, v32, v29 
             
	;;#ASMEND
	;; [unrolled: 5-line block ×16, first 2 shown]
	ds_read_b128 v[28:31], v92 offset:29696
	;;#ASMSTART
	
             v_fmac_f32 v56, v32, v20 
             
	;;#ASMEND
	;;#ASMSTART
	
             v_fmac_f32 v57, v32, v21 
             
	;;#ASMEND
	;; [unrolled: 5-line block ×16, first 2 shown]
	ds_read_b128 v[20:23], v92 offset:29952
	ds_read_b128 v[32:35], v91 offset:13568
	s_waitcnt lgkmcnt(2)
	;;#ASMSTART
	
             v_fmac_f32 v50, v24, v28 
             
	;;#ASMEND
	;;#ASMSTART
	
             v_fmac_f32 v51, v24, v29 
             
	;;#ASMEND
	;;#ASMSTART
	
             v_fmac_f32 v48, v24, v30 
             
	;;#ASMEND
	;;#ASMSTART
	
             v_fmac_f32 v49, v24, v31 
             
	;;#ASMEND
	;;#ASMSTART
	
             v_fmac_f32 v76, v25, v28 
             
	;;#ASMEND
	;;#ASMSTART
	
             v_fmac_f32 v77, v25, v29 
             
	;;#ASMEND
	;;#ASMSTART
	
             v_fmac_f32 v74, v25, v30 
             
	;;#ASMEND
	;;#ASMSTART
	
             v_fmac_f32 v75, v25, v31 
             
	;;#ASMEND
	;;#ASMSTART
	
             v_fmac_f32 v66, v26, v28 
             
	;;#ASMEND
	;;#ASMSTART
	
             v_fmac_f32 v67, v26, v29 
             
	;;#ASMEND
	;;#ASMSTART
	
             v_fmac_f32 v64, v26, v30 
             
	;;#ASMEND
	;;#ASMSTART
	
             v_fmac_f32 v65, v26, v31 
             
	;;#ASMEND
	;;#ASMSTART
	
             v_fmac_f32 v72, v27, v28 
             
	;;#ASMEND
	;;#ASMSTART
	
             v_fmac_f32 v73, v27, v29 
             
	;;#ASMEND
	;;#ASMSTART
	
             v_fmac_f32 v62, v27, v30 
             
	;;#ASMEND
	;;#ASMSTART
	
             v_fmac_f32 v63, v27, v31 
             
	;;#ASMEND
	s_waitcnt lgkmcnt(1)
	;;#ASMSTART
	
             v_fmac_f32 v54, v24, v20 
             
	;;#ASMEND
	;;#ASMSTART
	
             v_fmac_f32 v55, v24, v21 
             
	;;#ASMEND
	;; [unrolled: 5-line block ×16, first 2 shown]
	ds_read_b128 v[24:27], v91 offset:13824
	s_waitcnt lgkmcnt(1)
	;;#ASMSTART
	
             v_fmac_f32 v60, v32, v28 
             
	;;#ASMEND
	;;#ASMSTART
	
             v_fmac_f32 v61, v32, v29 
             
	;;#ASMEND
	;; [unrolled: 5-line block ×16, first 2 shown]
	ds_read_b128 v[28:31], v92 offset:30208
	;;#ASMSTART
	
             v_fmac_f32 v56, v32, v20 
             
	;;#ASMEND
	;;#ASMSTART
	
             v_fmac_f32 v57, v32, v21 
             
	;;#ASMEND
	;; [unrolled: 5-line block ×16, first 2 shown]
	ds_read_b128 v[20:23], v92 offset:30464
	ds_read_b128 v[32:35], v91 offset:14080
	s_waitcnt lgkmcnt(2)
	;;#ASMSTART
	
             v_fmac_f32 v50, v24, v28 
             
	;;#ASMEND
	;;#ASMSTART
	
             v_fmac_f32 v51, v24, v29 
             
	;;#ASMEND
	;; [unrolled: 5-line block ×16, first 2 shown]
	s_waitcnt lgkmcnt(1)
	;;#ASMSTART
	
             v_fmac_f32 v54, v24, v20 
             
	;;#ASMEND
	;;#ASMSTART
	
             v_fmac_f32 v55, v24, v21 
             
	;;#ASMEND
	;; [unrolled: 5-line block ×16, first 2 shown]
	ds_read_b128 v[24:27], v91 offset:14336
	s_waitcnt lgkmcnt(1)
	;;#ASMSTART
	
             v_fmac_f32 v60, v32, v28 
             
	;;#ASMEND
	;;#ASMSTART
	
             v_fmac_f32 v61, v32, v29 
             
	;;#ASMEND
	;; [unrolled: 5-line block ×16, first 2 shown]
	ds_read_b128 v[28:31], v92 offset:30720
	;;#ASMSTART
	
             v_fmac_f32 v56, v32, v20 
             
	;;#ASMEND
	;;#ASMSTART
	
             v_fmac_f32 v57, v32, v21 
             
	;;#ASMEND
	;; [unrolled: 5-line block ×16, first 2 shown]
	ds_read_b128 v[20:23], v92 offset:30976
	ds_read_b128 v[32:35], v91 offset:14592
	s_waitcnt lgkmcnt(2)
	;;#ASMSTART
	
             v_fmac_f32 v50, v24, v28 
             
	;;#ASMEND
	;;#ASMSTART
	
             v_fmac_f32 v51, v24, v29 
             
	;;#ASMEND
	;; [unrolled: 5-line block ×16, first 2 shown]
	s_waitcnt lgkmcnt(1)
	;;#ASMSTART
	
             v_fmac_f32 v54, v24, v20 
             
	;;#ASMEND
	;;#ASMSTART
	
             v_fmac_f32 v55, v24, v21 
             
	;;#ASMEND
	;; [unrolled: 5-line block ×16, first 2 shown]
	ds_read_b128 v[24:27], v91 offset:14848
	s_waitcnt lgkmcnt(1)
	;;#ASMSTART
	
             v_fmac_f32 v60, v32, v28 
             
	;;#ASMEND
	;;#ASMSTART
	
             v_fmac_f32 v61, v32, v29 
             
	;;#ASMEND
	;; [unrolled: 5-line block ×16, first 2 shown]
	ds_read_b128 v[28:31], v92 offset:31232
	;;#ASMSTART
	
             v_fmac_f32 v56, v32, v20 
             
	;;#ASMEND
	;;#ASMSTART
	
             v_fmac_f32 v57, v32, v21 
             
	;;#ASMEND
	;; [unrolled: 5-line block ×16, first 2 shown]
	ds_read_b128 v[20:23], v92 offset:31488
	ds_read_b128 v[32:35], v91 offset:15104
	s_waitcnt lgkmcnt(2)
	;;#ASMSTART
	
             v_fmac_f32 v50, v24, v28 
             
	;;#ASMEND
	;;#ASMSTART
	
             v_fmac_f32 v51, v24, v29 
             
	;;#ASMEND
	;; [unrolled: 5-line block ×16, first 2 shown]
	s_waitcnt lgkmcnt(1)
	;;#ASMSTART
	
             v_fmac_f32 v54, v24, v20 
             
	;;#ASMEND
	;;#ASMSTART
	
             v_fmac_f32 v55, v24, v21 
             
	;;#ASMEND
	;; [unrolled: 5-line block ×16, first 2 shown]
	ds_read_b128 v[24:27], v91 offset:15360
	s_waitcnt lgkmcnt(1)
	;;#ASMSTART
	
             v_fmac_f32 v60, v32, v28 
             
	;;#ASMEND
	;;#ASMSTART
	
             v_fmac_f32 v61, v32, v29 
             
	;;#ASMEND
	;; [unrolled: 5-line block ×16, first 2 shown]
	ds_read_b128 v[28:31], v92 offset:31744
	;;#ASMSTART
	
             v_fmac_f32 v56, v32, v20 
             
	;;#ASMEND
	;;#ASMSTART
	
             v_fmac_f32 v57, v32, v21 
             
	;;#ASMEND
	;; [unrolled: 5-line block ×16, first 2 shown]
	ds_read_b128 v[20:23], v92 offset:32000
	ds_read_b128 v[36:39], v91 offset:15616
	s_waitcnt lgkmcnt(2)
	;;#ASMSTART
	
             v_fmac_f32 v50, v24, v28 
             
	;;#ASMEND
	;;#ASMSTART
	
             v_fmac_f32 v51, v24, v29 
             
	;;#ASMEND
	;; [unrolled: 5-line block ×16, first 2 shown]
	s_waitcnt lgkmcnt(1)
	;;#ASMSTART
	
             v_fmac_f32 v54, v24, v20 
             
	;;#ASMEND
	;;#ASMSTART
	
             v_fmac_f32 v55, v24, v21 
             
	;;#ASMEND
	;; [unrolled: 5-line block ×16, first 2 shown]
	ds_read_b128 v[32:35], v91 offset:15872
	s_waitcnt lgkmcnt(1)
	;;#ASMSTART
	
             v_fmac_f32 v60, v36, v28 
             
	;;#ASMEND
	;;#ASMSTART
	
             v_fmac_f32 v61, v36, v29 
             
	;;#ASMEND
	;; [unrolled: 5-line block ×16, first 2 shown]
	ds_read_b128 v[28:31], v92 offset:32256
	;;#ASMSTART
	
             v_fmac_f32 v56, v36, v20 
             
	;;#ASMEND
	;;#ASMSTART
	
             v_fmac_f32 v57, v36, v21 
             
	;;#ASMEND
	;; [unrolled: 5-line block ×16, first 2 shown]
	ds_read_b128 v[20:23], v92 offset:32512
	ds_read_b128 v[24:27], v91 offset:16128
	s_waitcnt lgkmcnt(2)
	;;#ASMSTART
	
             v_fmac_f32 v50, v32, v28 
             
	;;#ASMEND
	;;#ASMSTART
	
             v_fmac_f32 v51, v32, v29 
             
	;;#ASMEND
	;; [unrolled: 5-line block ×16, first 2 shown]
	s_waitcnt lgkmcnt(1)
	;;#ASMSTART
	
             v_fmac_f32 v54, v32, v20 
             
	;;#ASMEND
	;;#ASMSTART
	
             v_fmac_f32 v55, v32, v21 
             
	;;#ASMEND
	;; [unrolled: 5-line block ×16, first 2 shown]
	s_waitcnt lgkmcnt(0)
	;;#ASMSTART
	
             v_fmac_f32 v60, v24, v28 
             
	;;#ASMEND
	;;#ASMSTART
	
             v_fmac_f32 v61, v24, v29 
             
	;;#ASMEND
	;; [unrolled: 5-line block ×29, first 2 shown]
	s_add_i32 s20, s20, 32
	v_accvgpr_read_b32 v20, a9
	v_cmp_ge_i32_e32 vcc, s20, v20
	;;#ASMSTART
	
             v_fmac_f32 v17, v27, v21 
             
	;;#ASMEND
	v_accvgpr_read_b32 v21, a10
	s_or_b64 s[16:17], vcc, s[16:17]
	;;#ASMSTART
	
             v_fmac_f32 v40, v27, v22 
             
	;;#ASMEND
	;;#ASMSTART
	
             v_fmac_f32 v41, v27, v23 
             
	;;#ASMEND
	ds_write2st64_b32 v95, v111, v110 offset1:2
	ds_write2st64_b32 v95, v109, v108 offset0:4 offset1:6
	ds_write2st64_b32 v95, v123, v122 offset0:8 offset1:10
	;; [unrolled: 1-line block ×3, first 2 shown]
	ds_write_b32 v95, v127 offset:16384
	ds_write2st64_b32 v21, v126, v125 offset0:2 offset1:4
	ds_write2st64_b32 v21, v124, v106 offset0:6 offset1:8
	;; [unrolled: 1-line block ×3, first 2 shown]
	ds_write_b32 v21, v14 offset:3584
	s_andn2_b64 exec, exec, s[16:17]
	s_cbranch_execnz .LBB3_9
; %bb.26:
	s_or_b64 exec, exec, s[16:17]
	s_waitcnt lgkmcnt(0)
	s_barrier
	ds_read_b128 v[8:11], v91
	ds_read_b128 v[20:23], v92 offset:16384
	ds_read_b128 v[0:3], v92 offset:16640
	ds_read_b128 v[24:27], v91 offset:256
	s_waitcnt lgkmcnt(2)
	;;#ASMSTART
	
             v_fmac_f32 v50, v8, v20 
             
	;;#ASMEND
	;;#ASMSTART
	
             v_fmac_f32 v51, v8, v21 
             
	;;#ASMEND
	;; [unrolled: 5-line block ×16, first 2 shown]
	s_waitcnt lgkmcnt(1)
	;;#ASMSTART
	
             v_fmac_f32 v54, v8, v0 
             
	;;#ASMEND
	;;#ASMSTART
	
             v_fmac_f32 v55, v8, v1 
             
	;;#ASMEND
	;; [unrolled: 5-line block ×16, first 2 shown]
	ds_read_b128 v[8:11], v91 offset:512
	s_waitcnt lgkmcnt(1)
	;;#ASMSTART
	
             v_fmac_f32 v60, v24, v20 
             
	;;#ASMEND
	;;#ASMSTART
	
             v_fmac_f32 v61, v24, v21 
             
	;;#ASMEND
	;; [unrolled: 5-line block ×16, first 2 shown]
	ds_read_b128 v[20:23], v92 offset:16896
	;;#ASMSTART
	
             v_fmac_f32 v56, v24, v0 
             
	;;#ASMEND
	;;#ASMSTART
	
             v_fmac_f32 v57, v24, v1 
             
	;;#ASMEND
	;; [unrolled: 5-line block ×16, first 2 shown]
	ds_read_b128 v[0:3], v92 offset:17152
	ds_read_b128 v[24:27], v91 offset:768
	s_waitcnt lgkmcnt(2)
	;;#ASMSTART
	
             v_fmac_f32 v50, v8, v20 
             
	;;#ASMEND
	;;#ASMSTART
	
             v_fmac_f32 v51, v8, v21 
             
	;;#ASMEND
	;; [unrolled: 5-line block ×16, first 2 shown]
	s_waitcnt lgkmcnt(1)
	;;#ASMSTART
	
             v_fmac_f32 v54, v8, v0 
             
	;;#ASMEND
	;;#ASMSTART
	
             v_fmac_f32 v55, v8, v1 
             
	;;#ASMEND
	;; [unrolled: 5-line block ×16, first 2 shown]
	ds_read_b128 v[8:11], v91 offset:1024
	s_waitcnt lgkmcnt(1)
	;;#ASMSTART
	
             v_fmac_f32 v60, v24, v20 
             
	;;#ASMEND
	;;#ASMSTART
	
             v_fmac_f32 v61, v24, v21 
             
	;;#ASMEND
	;; [unrolled: 5-line block ×16, first 2 shown]
	ds_read_b128 v[20:23], v92 offset:17408
	;;#ASMSTART
	
             v_fmac_f32 v56, v24, v0 
             
	;;#ASMEND
	;;#ASMSTART
	
             v_fmac_f32 v57, v24, v1 
             
	;;#ASMEND
	;; [unrolled: 5-line block ×16, first 2 shown]
	ds_read_b128 v[0:3], v92 offset:17664
	ds_read_b128 v[24:27], v91 offset:1280
	s_waitcnt lgkmcnt(2)
	;;#ASMSTART
	
             v_fmac_f32 v50, v8, v20 
             
	;;#ASMEND
	;;#ASMSTART
	
             v_fmac_f32 v51, v8, v21 
             
	;;#ASMEND
	;; [unrolled: 5-line block ×16, first 2 shown]
	s_waitcnt lgkmcnt(1)
	;;#ASMSTART
	
             v_fmac_f32 v54, v8, v0 
             
	;;#ASMEND
	;;#ASMSTART
	
             v_fmac_f32 v55, v8, v1 
             
	;;#ASMEND
	;; [unrolled: 5-line block ×16, first 2 shown]
	ds_read_b128 v[8:11], v91 offset:1536
	s_waitcnt lgkmcnt(1)
	;;#ASMSTART
	
             v_fmac_f32 v60, v24, v20 
             
	;;#ASMEND
	;;#ASMSTART
	
             v_fmac_f32 v61, v24, v21 
             
	;;#ASMEND
	;; [unrolled: 5-line block ×16, first 2 shown]
	ds_read_b128 v[20:23], v92 offset:17920
	;;#ASMSTART
	
             v_fmac_f32 v56, v24, v0 
             
	;;#ASMEND
	;;#ASMSTART
	
             v_fmac_f32 v57, v24, v1 
             
	;;#ASMEND
	;;#ASMSTART
	
             v_fmac_f32 v46, v24, v2 
             
	;;#ASMEND
	;;#ASMSTART
	
             v_fmac_f32 v47, v24, v3 
             
	;;#ASMEND
	;;#ASMSTART
	
             v_fmac_f32 v98, v25, v0 
             
	;;#ASMEND
	;;#ASMSTART
	
             v_fmac_f32 v99, v25, v1 
             
	;;#ASMEND
	;;#ASMSTART
	
             v_fmac_f32 v96, v25, v2 
             
	;;#ASMEND
	;;#ASMSTART
	
             v_fmac_f32 v97, v25, v3 
             
	;;#ASMEND
	;;#ASMSTART
	
             v_fmac_f32 v114, v26, v0 
             
	;;#ASMEND
	;;#ASMSTART
	
             v_fmac_f32 v115, v26, v1 
             
	;;#ASMEND
	;;#ASMSTART
	
             v_fmac_f32 v112, v26, v2 
             
	;;#ASMEND
	;;#ASMSTART
	
             v_fmac_f32 v113, v26, v3 
             
	;;#ASMEND
	;;#ASMSTART
	
             v_fmac_f32 v16, v27, v0 
             
	;;#ASMEND
	;;#ASMSTART
	
             v_fmac_f32 v17, v27, v1 
             
	;;#ASMEND
	;;#ASMSTART
	
             v_fmac_f32 v40, v27, v2 
             
	;;#ASMEND
	;;#ASMSTART
	
             v_fmac_f32 v41, v27, v3 
             
	;;#ASMEND
	ds_read_b128 v[0:3], v92 offset:18176
	ds_read_b128 v[24:27], v91 offset:1792
	s_waitcnt lgkmcnt(2)
	;;#ASMSTART
	
             v_fmac_f32 v50, v8, v20 
             
	;;#ASMEND
	;;#ASMSTART
	
             v_fmac_f32 v51, v8, v21 
             
	;;#ASMEND
	;; [unrolled: 5-line block ×16, first 2 shown]
	s_waitcnt lgkmcnt(1)
	;;#ASMSTART
	
             v_fmac_f32 v54, v8, v0 
             
	;;#ASMEND
	;;#ASMSTART
	
             v_fmac_f32 v55, v8, v1 
             
	;;#ASMEND
	;; [unrolled: 5-line block ×16, first 2 shown]
	ds_read_b128 v[8:11], v91 offset:2048
	s_waitcnt lgkmcnt(1)
	;;#ASMSTART
	
             v_fmac_f32 v60, v24, v20 
             
	;;#ASMEND
	;;#ASMSTART
	
             v_fmac_f32 v61, v24, v21 
             
	;;#ASMEND
	;;#ASMSTART
	
             v_fmac_f32 v58, v24, v22 
             
	;;#ASMEND
	;;#ASMSTART
	
             v_fmac_f32 v59, v24, v23 
             
	;;#ASMEND
	;;#ASMSTART
	
             v_fmac_f32 v44, v25, v20 
             
	;;#ASMEND
	;;#ASMSTART
	
             v_fmac_f32 v45, v25, v21 
             
	;;#ASMEND
	;;#ASMSTART
	
             v_fmac_f32 v42, v25, v22 
             
	;;#ASMEND
	;;#ASMSTART
	
             v_fmac_f32 v43, v25, v23 
             
	;;#ASMEND
	;;#ASMSTART
	
             v_fmac_f32 v102, v26, v20 
             
	;;#ASMEND
	;;#ASMSTART
	
             v_fmac_f32 v103, v26, v21 
             
	;;#ASMEND
	;;#ASMSTART
	
             v_fmac_f32 v100, v26, v22 
             
	;;#ASMEND
	;;#ASMSTART
	
             v_fmac_f32 v101, v26, v23 
             
	;;#ASMEND
	;;#ASMSTART
	
             v_fmac_f32 v118, v27, v20 
             
	;;#ASMEND
	;;#ASMSTART
	
             v_fmac_f32 v119, v27, v21 
             
	;;#ASMEND
	;;#ASMSTART
	
             v_fmac_f32 v116, v27, v22 
             
	;;#ASMEND
	;;#ASMSTART
	
             v_fmac_f32 v117, v27, v23 
             
	;;#ASMEND
	ds_read_b128 v[20:23], v92 offset:18432
	;;#ASMSTART
	
             v_fmac_f32 v56, v24, v0 
             
	;;#ASMEND
	;;#ASMSTART
	
             v_fmac_f32 v57, v24, v1 
             
	;;#ASMEND
	;; [unrolled: 5-line block ×16, first 2 shown]
	ds_read_b128 v[0:3], v92 offset:18688
	ds_read_b128 v[24:27], v91 offset:2304
	s_waitcnt lgkmcnt(2)
	;;#ASMSTART
	
             v_fmac_f32 v50, v8, v20 
             
	;;#ASMEND
	;;#ASMSTART
	
             v_fmac_f32 v51, v8, v21 
             
	;;#ASMEND
	;; [unrolled: 5-line block ×16, first 2 shown]
	s_waitcnt lgkmcnt(1)
	;;#ASMSTART
	
             v_fmac_f32 v54, v8, v0 
             
	;;#ASMEND
	;;#ASMSTART
	
             v_fmac_f32 v55, v8, v1 
             
	;;#ASMEND
	;; [unrolled: 5-line block ×16, first 2 shown]
	ds_read_b128 v[8:11], v91 offset:2560
	s_waitcnt lgkmcnt(1)
	;;#ASMSTART
	
             v_fmac_f32 v60, v24, v20 
             
	;;#ASMEND
	;;#ASMSTART
	
             v_fmac_f32 v61, v24, v21 
             
	;;#ASMEND
	;; [unrolled: 5-line block ×16, first 2 shown]
	ds_read_b128 v[20:23], v92 offset:18944
	;;#ASMSTART
	
             v_fmac_f32 v56, v24, v0 
             
	;;#ASMEND
	;;#ASMSTART
	
             v_fmac_f32 v57, v24, v1 
             
	;;#ASMEND
	;; [unrolled: 5-line block ×16, first 2 shown]
	ds_read_b128 v[0:3], v92 offset:19200
	ds_read_b128 v[24:27], v91 offset:2816
	s_waitcnt lgkmcnt(2)
	;;#ASMSTART
	
             v_fmac_f32 v50, v8, v20 
             
	;;#ASMEND
	;;#ASMSTART
	
             v_fmac_f32 v51, v8, v21 
             
	;;#ASMEND
	;; [unrolled: 5-line block ×16, first 2 shown]
	s_waitcnt lgkmcnt(1)
	;;#ASMSTART
	
             v_fmac_f32 v54, v8, v0 
             
	;;#ASMEND
	;;#ASMSTART
	
             v_fmac_f32 v55, v8, v1 
             
	;;#ASMEND
	;; [unrolled: 5-line block ×16, first 2 shown]
	ds_read_b128 v[8:11], v91 offset:3072
	s_waitcnt lgkmcnt(1)
	;;#ASMSTART
	
             v_fmac_f32 v60, v24, v20 
             
	;;#ASMEND
	;;#ASMSTART
	
             v_fmac_f32 v61, v24, v21 
             
	;;#ASMEND
	;;#ASMSTART
	
             v_fmac_f32 v58, v24, v22 
             
	;;#ASMEND
	;;#ASMSTART
	
             v_fmac_f32 v59, v24, v23 
             
	;;#ASMEND
	;;#ASMSTART
	
             v_fmac_f32 v44, v25, v20 
             
	;;#ASMEND
	;;#ASMSTART
	
             v_fmac_f32 v45, v25, v21 
             
	;;#ASMEND
	;;#ASMSTART
	
             v_fmac_f32 v42, v25, v22 
             
	;;#ASMEND
	;;#ASMSTART
	
             v_fmac_f32 v43, v25, v23 
             
	;;#ASMEND
	;;#ASMSTART
	
             v_fmac_f32 v102, v26, v20 
             
	;;#ASMEND
	;;#ASMSTART
	
             v_fmac_f32 v103, v26, v21 
             
	;;#ASMEND
	;;#ASMSTART
	
             v_fmac_f32 v100, v26, v22 
             
	;;#ASMEND
	;;#ASMSTART
	
             v_fmac_f32 v101, v26, v23 
             
	;;#ASMEND
	;;#ASMSTART
	
             v_fmac_f32 v118, v27, v20 
             
	;;#ASMEND
	;;#ASMSTART
	
             v_fmac_f32 v119, v27, v21 
             
	;;#ASMEND
	;;#ASMSTART
	
             v_fmac_f32 v116, v27, v22 
             
	;;#ASMEND
	;;#ASMSTART
	
             v_fmac_f32 v117, v27, v23 
             
	;;#ASMEND
	ds_read_b128 v[20:23], v92 offset:19456
	;;#ASMSTART
	
             v_fmac_f32 v56, v24, v0 
             
	;;#ASMEND
	;;#ASMSTART
	
             v_fmac_f32 v57, v24, v1 
             
	;;#ASMEND
	;; [unrolled: 5-line block ×16, first 2 shown]
	ds_read_b128 v[0:3], v92 offset:19712
	ds_read_b128 v[24:27], v91 offset:3328
	s_waitcnt lgkmcnt(2)
	;;#ASMSTART
	
             v_fmac_f32 v50, v8, v20 
             
	;;#ASMEND
	;;#ASMSTART
	
             v_fmac_f32 v51, v8, v21 
             
	;;#ASMEND
	;; [unrolled: 5-line block ×16, first 2 shown]
	s_waitcnt lgkmcnt(1)
	;;#ASMSTART
	
             v_fmac_f32 v54, v8, v0 
             
	;;#ASMEND
	;;#ASMSTART
	
             v_fmac_f32 v55, v8, v1 
             
	;;#ASMEND
	;;#ASMSTART
	
             v_fmac_f32 v52, v8, v2 
             
	;;#ASMEND
	;;#ASMSTART
	
             v_fmac_f32 v53, v8, v3 
             
	;;#ASMEND
	;;#ASMSTART
	
             v_fmac_f32 v82, v9, v0 
             
	;;#ASMEND
	;;#ASMSTART
	
             v_fmac_f32 v83, v9, v1 
             
	;;#ASMEND
	;;#ASMSTART
	
             v_fmac_f32 v80, v9, v2 
             
	;;#ASMEND
	;;#ASMSTART
	
             v_fmac_f32 v81, v9, v3 
             
	;;#ASMEND
	;;#ASMSTART
	
             v_fmac_f32 v70, v10, v0 
             
	;;#ASMEND
	;;#ASMSTART
	
             v_fmac_f32 v71, v10, v1 
             
	;;#ASMEND
	;;#ASMSTART
	
             v_fmac_f32 v68, v10, v2 
             
	;;#ASMEND
	;;#ASMSTART
	
             v_fmac_f32 v69, v10, v3 
             
	;;#ASMEND
	;;#ASMSTART
	
             v_fmac_f32 v86, v11, v0 
             
	;;#ASMEND
	;;#ASMSTART
	
             v_fmac_f32 v87, v11, v1 
             
	;;#ASMEND
	;;#ASMSTART
	
             v_fmac_f32 v84, v11, v2 
             
	;;#ASMEND
	;;#ASMSTART
	
             v_fmac_f32 v85, v11, v3 
             
	;;#ASMEND
	ds_read_b128 v[8:11], v91 offset:3584
	s_waitcnt lgkmcnt(1)
	;;#ASMSTART
	
             v_fmac_f32 v60, v24, v20 
             
	;;#ASMEND
	;;#ASMSTART
	
             v_fmac_f32 v61, v24, v21 
             
	;;#ASMEND
	;; [unrolled: 5-line block ×16, first 2 shown]
	ds_read_b128 v[20:23], v92 offset:19968
	;;#ASMSTART
	
             v_fmac_f32 v56, v24, v0 
             
	;;#ASMEND
	;;#ASMSTART
	
             v_fmac_f32 v57, v24, v1 
             
	;;#ASMEND
	;; [unrolled: 5-line block ×16, first 2 shown]
	ds_read_b128 v[0:3], v92 offset:20224
	ds_read_b128 v[24:27], v91 offset:3840
	s_waitcnt lgkmcnt(2)
	;;#ASMSTART
	
             v_fmac_f32 v50, v8, v20 
             
	;;#ASMEND
	;;#ASMSTART
	
             v_fmac_f32 v51, v8, v21 
             
	;;#ASMEND
	;; [unrolled: 5-line block ×16, first 2 shown]
	s_waitcnt lgkmcnt(1)
	;;#ASMSTART
	
             v_fmac_f32 v54, v8, v0 
             
	;;#ASMEND
	;;#ASMSTART
	
             v_fmac_f32 v55, v8, v1 
             
	;;#ASMEND
	;; [unrolled: 5-line block ×16, first 2 shown]
	ds_read_b128 v[8:11], v91 offset:4096
	s_waitcnt lgkmcnt(1)
	;;#ASMSTART
	
             v_fmac_f32 v60, v24, v20 
             
	;;#ASMEND
	;;#ASMSTART
	
             v_fmac_f32 v61, v24, v21 
             
	;;#ASMEND
	;; [unrolled: 5-line block ×16, first 2 shown]
	ds_read_b128 v[20:23], v92 offset:20480
	;;#ASMSTART
	
             v_fmac_f32 v56, v24, v0 
             
	;;#ASMEND
	;;#ASMSTART
	
             v_fmac_f32 v57, v24, v1 
             
	;;#ASMEND
	;; [unrolled: 5-line block ×16, first 2 shown]
	ds_read_b128 v[0:3], v92 offset:20736
	ds_read_b128 v[24:27], v91 offset:4352
	s_waitcnt lgkmcnt(2)
	;;#ASMSTART
	
             v_fmac_f32 v50, v8, v20 
             
	;;#ASMEND
	;;#ASMSTART
	
             v_fmac_f32 v51, v8, v21 
             
	;;#ASMEND
	;; [unrolled: 5-line block ×16, first 2 shown]
	s_waitcnt lgkmcnt(1)
	;;#ASMSTART
	
             v_fmac_f32 v54, v8, v0 
             
	;;#ASMEND
	;;#ASMSTART
	
             v_fmac_f32 v55, v8, v1 
             
	;;#ASMEND
	;; [unrolled: 5-line block ×16, first 2 shown]
	ds_read_b128 v[8:11], v91 offset:4608
	s_waitcnt lgkmcnt(1)
	;;#ASMSTART
	
             v_fmac_f32 v60, v24, v20 
             
	;;#ASMEND
	;;#ASMSTART
	
             v_fmac_f32 v61, v24, v21 
             
	;;#ASMEND
	;; [unrolled: 5-line block ×16, first 2 shown]
	ds_read_b128 v[20:23], v92 offset:20992
	;;#ASMSTART
	
             v_fmac_f32 v56, v24, v0 
             
	;;#ASMEND
	;;#ASMSTART
	
             v_fmac_f32 v57, v24, v1 
             
	;;#ASMEND
	;; [unrolled: 5-line block ×16, first 2 shown]
	ds_read_b128 v[0:3], v92 offset:21248
	ds_read_b128 v[24:27], v91 offset:4864
	s_waitcnt lgkmcnt(2)
	;;#ASMSTART
	
             v_fmac_f32 v50, v8, v20 
             
	;;#ASMEND
	;;#ASMSTART
	
             v_fmac_f32 v51, v8, v21 
             
	;;#ASMEND
	;; [unrolled: 5-line block ×16, first 2 shown]
	s_waitcnt lgkmcnt(1)
	;;#ASMSTART
	
             v_fmac_f32 v54, v8, v0 
             
	;;#ASMEND
	;;#ASMSTART
	
             v_fmac_f32 v55, v8, v1 
             
	;;#ASMEND
	;;#ASMSTART
	
             v_fmac_f32 v52, v8, v2 
             
	;;#ASMEND
	;;#ASMSTART
	
             v_fmac_f32 v53, v8, v3 
             
	;;#ASMEND
	;;#ASMSTART
	
             v_fmac_f32 v82, v9, v0 
             
	;;#ASMEND
	;;#ASMSTART
	
             v_fmac_f32 v83, v9, v1 
             
	;;#ASMEND
	;;#ASMSTART
	
             v_fmac_f32 v80, v9, v2 
             
	;;#ASMEND
	;;#ASMSTART
	
             v_fmac_f32 v81, v9, v3 
             
	;;#ASMEND
	;;#ASMSTART
	
             v_fmac_f32 v70, v10, v0 
             
	;;#ASMEND
	;;#ASMSTART
	
             v_fmac_f32 v71, v10, v1 
             
	;;#ASMEND
	;;#ASMSTART
	
             v_fmac_f32 v68, v10, v2 
             
	;;#ASMEND
	;;#ASMSTART
	
             v_fmac_f32 v69, v10, v3 
             
	;;#ASMEND
	;;#ASMSTART
	
             v_fmac_f32 v86, v11, v0 
             
	;;#ASMEND
	;;#ASMSTART
	
             v_fmac_f32 v87, v11, v1 
             
	;;#ASMEND
	;;#ASMSTART
	
             v_fmac_f32 v84, v11, v2 
             
	;;#ASMEND
	;;#ASMSTART
	
             v_fmac_f32 v85, v11, v3 
             
	;;#ASMEND
	ds_read_b128 v[8:11], v91 offset:5120
	s_waitcnt lgkmcnt(1)
	;;#ASMSTART
	
             v_fmac_f32 v60, v24, v20 
             
	;;#ASMEND
	;;#ASMSTART
	
             v_fmac_f32 v61, v24, v21 
             
	;;#ASMEND
	;; [unrolled: 5-line block ×16, first 2 shown]
	ds_read_b128 v[20:23], v92 offset:21504
	;;#ASMSTART
	
             v_fmac_f32 v56, v24, v0 
             
	;;#ASMEND
	;;#ASMSTART
	
             v_fmac_f32 v57, v24, v1 
             
	;;#ASMEND
	;; [unrolled: 5-line block ×16, first 2 shown]
	ds_read_b128 v[0:3], v92 offset:21760
	ds_read_b128 v[24:27], v91 offset:5376
	s_waitcnt lgkmcnt(2)
	;;#ASMSTART
	
             v_fmac_f32 v50, v8, v20 
             
	;;#ASMEND
	;;#ASMSTART
	
             v_fmac_f32 v51, v8, v21 
             
	;;#ASMEND
	;; [unrolled: 5-line block ×16, first 2 shown]
	s_waitcnt lgkmcnt(1)
	;;#ASMSTART
	
             v_fmac_f32 v54, v8, v0 
             
	;;#ASMEND
	;;#ASMSTART
	
             v_fmac_f32 v55, v8, v1 
             
	;;#ASMEND
	;; [unrolled: 5-line block ×16, first 2 shown]
	ds_read_b128 v[8:11], v91 offset:5632
	s_waitcnt lgkmcnt(1)
	;;#ASMSTART
	
             v_fmac_f32 v60, v24, v20 
             
	;;#ASMEND
	;;#ASMSTART
	
             v_fmac_f32 v61, v24, v21 
             
	;;#ASMEND
	;; [unrolled: 5-line block ×16, first 2 shown]
	ds_read_b128 v[20:23], v92 offset:22016
	;;#ASMSTART
	
             v_fmac_f32 v56, v24, v0 
             
	;;#ASMEND
	;;#ASMSTART
	
             v_fmac_f32 v57, v24, v1 
             
	;;#ASMEND
	;; [unrolled: 5-line block ×16, first 2 shown]
	ds_read_b128 v[0:3], v92 offset:22272
	ds_read_b128 v[24:27], v91 offset:5888
	s_waitcnt lgkmcnt(2)
	;;#ASMSTART
	
             v_fmac_f32 v50, v8, v20 
             
	;;#ASMEND
	;;#ASMSTART
	
             v_fmac_f32 v51, v8, v21 
             
	;;#ASMEND
	;; [unrolled: 5-line block ×16, first 2 shown]
	s_waitcnt lgkmcnt(1)
	;;#ASMSTART
	
             v_fmac_f32 v54, v8, v0 
             
	;;#ASMEND
	;;#ASMSTART
	
             v_fmac_f32 v55, v8, v1 
             
	;;#ASMEND
	;; [unrolled: 5-line block ×16, first 2 shown]
	ds_read_b128 v[8:11], v91 offset:6144
	s_waitcnt lgkmcnt(1)
	;;#ASMSTART
	
             v_fmac_f32 v60, v24, v20 
             
	;;#ASMEND
	;;#ASMSTART
	
             v_fmac_f32 v61, v24, v21 
             
	;;#ASMEND
	;; [unrolled: 5-line block ×16, first 2 shown]
	ds_read_b128 v[20:23], v92 offset:22528
	;;#ASMSTART
	
             v_fmac_f32 v56, v24, v0 
             
	;;#ASMEND
	;;#ASMSTART
	
             v_fmac_f32 v57, v24, v1 
             
	;;#ASMEND
	;; [unrolled: 5-line block ×16, first 2 shown]
	ds_read_b128 v[0:3], v92 offset:22784
	ds_read_b128 v[24:27], v91 offset:6400
	s_waitcnt lgkmcnt(2)
	;;#ASMSTART
	
             v_fmac_f32 v50, v8, v20 
             
	;;#ASMEND
	;;#ASMSTART
	
             v_fmac_f32 v51, v8, v21 
             
	;;#ASMEND
	;; [unrolled: 5-line block ×16, first 2 shown]
	s_waitcnt lgkmcnt(1)
	;;#ASMSTART
	
             v_fmac_f32 v54, v8, v0 
             
	;;#ASMEND
	;;#ASMSTART
	
             v_fmac_f32 v55, v8, v1 
             
	;;#ASMEND
	;; [unrolled: 5-line block ×16, first 2 shown]
	ds_read_b128 v[8:11], v91 offset:6656
	s_waitcnt lgkmcnt(1)
	;;#ASMSTART
	
             v_fmac_f32 v60, v24, v20 
             
	;;#ASMEND
	;;#ASMSTART
	
             v_fmac_f32 v61, v24, v21 
             
	;;#ASMEND
	;; [unrolled: 5-line block ×16, first 2 shown]
	ds_read_b128 v[20:23], v92 offset:23040
	;;#ASMSTART
	
             v_fmac_f32 v56, v24, v0 
             
	;;#ASMEND
	;;#ASMSTART
	
             v_fmac_f32 v57, v24, v1 
             
	;;#ASMEND
	;; [unrolled: 5-line block ×16, first 2 shown]
	ds_read_b128 v[0:3], v92 offset:23296
	ds_read_b128 v[24:27], v91 offset:6912
	s_waitcnt lgkmcnt(2)
	;;#ASMSTART
	
             v_fmac_f32 v50, v8, v20 
             
	;;#ASMEND
	;;#ASMSTART
	
             v_fmac_f32 v51, v8, v21 
             
	;;#ASMEND
	;; [unrolled: 5-line block ×16, first 2 shown]
	s_waitcnt lgkmcnt(1)
	;;#ASMSTART
	
             v_fmac_f32 v54, v8, v0 
             
	;;#ASMEND
	;;#ASMSTART
	
             v_fmac_f32 v55, v8, v1 
             
	;;#ASMEND
	;; [unrolled: 5-line block ×16, first 2 shown]
	ds_read_b128 v[8:11], v91 offset:7168
	s_waitcnt lgkmcnt(1)
	;;#ASMSTART
	
             v_fmac_f32 v60, v24, v20 
             
	;;#ASMEND
	;;#ASMSTART
	
             v_fmac_f32 v61, v24, v21 
             
	;;#ASMEND
	;; [unrolled: 5-line block ×16, first 2 shown]
	ds_read_b128 v[20:23], v92 offset:23552
	;;#ASMSTART
	
             v_fmac_f32 v56, v24, v0 
             
	;;#ASMEND
	;;#ASMSTART
	
             v_fmac_f32 v57, v24, v1 
             
	;;#ASMEND
	;;#ASMSTART
	
             v_fmac_f32 v46, v24, v2 
             
	;;#ASMEND
	;;#ASMSTART
	
             v_fmac_f32 v47, v24, v3 
             
	;;#ASMEND
	;;#ASMSTART
	
             v_fmac_f32 v98, v25, v0 
             
	;;#ASMEND
	;;#ASMSTART
	
             v_fmac_f32 v99, v25, v1 
             
	;;#ASMEND
	;;#ASMSTART
	
             v_fmac_f32 v96, v25, v2 
             
	;;#ASMEND
	;;#ASMSTART
	
             v_fmac_f32 v97, v25, v3 
             
	;;#ASMEND
	;;#ASMSTART
	
             v_fmac_f32 v114, v26, v0 
             
	;;#ASMEND
	;;#ASMSTART
	
             v_fmac_f32 v115, v26, v1 
             
	;;#ASMEND
	;;#ASMSTART
	
             v_fmac_f32 v112, v26, v2 
             
	;;#ASMEND
	;;#ASMSTART
	
             v_fmac_f32 v113, v26, v3 
             
	;;#ASMEND
	;;#ASMSTART
	
             v_fmac_f32 v16, v27, v0 
             
	;;#ASMEND
	;;#ASMSTART
	
             v_fmac_f32 v17, v27, v1 
             
	;;#ASMEND
	;;#ASMSTART
	
             v_fmac_f32 v40, v27, v2 
             
	;;#ASMEND
	;;#ASMSTART
	
             v_fmac_f32 v41, v27, v3 
             
	;;#ASMEND
	ds_read_b128 v[0:3], v92 offset:23808
	ds_read_b128 v[24:27], v91 offset:7424
	s_waitcnt lgkmcnt(2)
	;;#ASMSTART
	
             v_fmac_f32 v50, v8, v20 
             
	;;#ASMEND
	;;#ASMSTART
	
             v_fmac_f32 v51, v8, v21 
             
	;;#ASMEND
	;; [unrolled: 5-line block ×16, first 2 shown]
	s_waitcnt lgkmcnt(1)
	;;#ASMSTART
	
             v_fmac_f32 v54, v8, v0 
             
	;;#ASMEND
	;;#ASMSTART
	
             v_fmac_f32 v55, v8, v1 
             
	;;#ASMEND
	;; [unrolled: 5-line block ×16, first 2 shown]
	ds_read_b128 v[8:11], v91 offset:7680
	s_waitcnt lgkmcnt(1)
	;;#ASMSTART
	
             v_fmac_f32 v60, v24, v20 
             
	;;#ASMEND
	;;#ASMSTART
	
             v_fmac_f32 v61, v24, v21 
             
	;;#ASMEND
	;; [unrolled: 5-line block ×16, first 2 shown]
	ds_read_b128 v[20:23], v92 offset:24064
	;;#ASMSTART
	
             v_fmac_f32 v56, v24, v0 
             
	;;#ASMEND
	;;#ASMSTART
	
             v_fmac_f32 v57, v24, v1 
             
	;;#ASMEND
	;; [unrolled: 5-line block ×16, first 2 shown]
	ds_read_b128 v[0:3], v92 offset:24320
	ds_read_b128 v[24:27], v91 offset:7936
	s_waitcnt lgkmcnt(2)
	;;#ASMSTART
	
             v_fmac_f32 v50, v8, v20 
             
	;;#ASMEND
	;;#ASMSTART
	
             v_fmac_f32 v51, v8, v21 
             
	;;#ASMEND
	;; [unrolled: 5-line block ×16, first 2 shown]
	s_waitcnt lgkmcnt(1)
	;;#ASMSTART
	
             v_fmac_f32 v54, v8, v0 
             
	;;#ASMEND
	;;#ASMSTART
	
             v_fmac_f32 v55, v8, v1 
             
	;;#ASMEND
	;; [unrolled: 5-line block ×16, first 2 shown]
	s_waitcnt lgkmcnt(0)
	;;#ASMSTART
	
             v_fmac_f32 v60, v24, v20 
             
	;;#ASMEND
	;;#ASMSTART
	
             v_fmac_f32 v61, v24, v21 
             
	;;#ASMEND
	;; [unrolled: 5-line block ×30, first 2 shown]
	v_accvgpr_read_b32 v0, a4
	v_accvgpr_read_b32 v1, a5
	;;#ASMSTART
	
             v_fmac_f32 v40, v27, v2 
             
	;;#ASMEND
	;;#ASMSTART
	
             v_fmac_f32 v41, v27, v3 
             
	;;#ASMEND
	flat_load_dwordx2 v[38:39], v[0:1] offset:8
	flat_load_dword v10, v[0:1] offset:32
	flat_load_dword v4, v[0:1] offset:20
	s_nop 0
	flat_load_dword v1, v[0:1] offset:72
	v_accvgpr_read_b32 v0, a3
	v_lshl_add_u32 v14, s18, 7, v0
	v_accvgpr_read_b32 v0, a6
	v_lshl_add_u32 v78, s19, 7, v0
	v_mov_b32_e32 v21, 0x20000
	s_mov_b64 s[16:17], exec
	s_waitcnt vmcnt(0) lgkmcnt(0)
	v_mul_lo_u32 v0, v38, v78
	v_cmp_gt_i32_e32 vcc, v10, v14
	v_cmp_gt_i32_e64 s[6:7], v4, v78
	v_mad_u64_u32 v[8:9], s[4:5], v39, v14, v[0:1]
	s_and_b64 s[4:5], s[6:7], vcc
	v_lshlrev_b32_e32 v20, 2, v1
	v_lshlrev_b32_e32 v5, 2, v8
.LBB3_27:                               ; =>This Inner Loop Header: Depth=1
	v_readfirstlane_b32 s12, v18
	v_readfirstlane_b32 s13, v19
	;; [unrolled: 1-line block ×4, first 2 shown]
	v_cmp_eq_u64_e64 s[8:9], s[12:13], v[18:19]
	v_cmp_eq_u64_e64 s[10:11], s[14:15], v[20:21]
	s_and_b64 s[8:9], s[8:9], s[10:11]
	s_and_saveexec_b64 s[8:9], s[8:9]
	s_nop 0
	buffer_load_dwordx4 v[0:3], v5, s[12:15], 0 offen
                                        ; implicit-def: $vgpr5
	s_xor_b64 exec, exec, s[8:9]
	s_cbranch_execnz .LBB3_27
; %bb.28:
	s_mov_b64 exec, s[16:17]
	s_waitcnt vmcnt(0)
	v_cndmask_b32_e64 v3, 0, v3, s[4:5]
	v_cndmask_b32_e64 v2, 0, v2, s[4:5]
	;; [unrolled: 1-line block ×4, first 2 shown]
	v_add_u32_e32 v15, 64, v14
	v_pk_add_f32 v[0:1], v[50:51], v[0:1]
	v_pk_add_f32 v[2:3], v[48:49], v[2:3]
	v_lshlrev_b32_e32 v5, 6, v39
	v_cmp_gt_i32_e64 s[4:5], v10, v15
	v_max_f32_e32 v51, 0, v3
	v_max_f32_e32 v50, 0, v2
	v_max_f32_e32 v49, 0, v1
	v_max_f32_e32 v48, 0, v0
	s_and_b64 s[6:7], s[6:7], s[4:5]
	v_add_lshl_u32 v9, v8, v5, 2
	s_mov_b64 s[16:17], exec
.LBB3_29:                               ; =>This Inner Loop Header: Depth=1
	v_readfirstlane_b32 s12, v18
	v_readfirstlane_b32 s13, v19
	v_readfirstlane_b32 s14, v20
	v_readfirstlane_b32 s15, v21
	v_cmp_eq_u64_e64 s[8:9], s[12:13], v[18:19]
	v_cmp_eq_u64_e64 s[10:11], s[14:15], v[20:21]
	s_and_b64 s[8:9], s[8:9], s[10:11]
	s_and_saveexec_b64 s[8:9], s[8:9]
	s_nop 0
	buffer_load_dwordx4 v[0:3], v9, s[12:15], 0 offen
                                        ; implicit-def: $vgpr9
	s_xor_b64 exec, exec, s[8:9]
	s_cbranch_execnz .LBB3_29
; %bb.30:
	s_mov_b64 exec, s[16:17]
	s_waitcnt vmcnt(0)
	v_cndmask_b32_e64 v3, 0, v3, s[6:7]
	v_cndmask_b32_e64 v2, 0, v2, s[6:7]
	v_cndmask_b32_e64 v1, 0, v1, s[6:7]
	v_cndmask_b32_e64 v0, 0, v0, s[6:7]
	v_or_b32_e32 v79, 1, v78
	v_pk_add_f32 v[0:1], v[54:55], v[0:1]
	v_pk_add_f32 v[2:3], v[52:53], v[2:3]
	v_add_u32_e32 v8, v8, v38
	v_cmp_gt_i32_e64 s[6:7], v4, v79
	v_max_f32_e32 v55, 0, v3
	v_max_f32_e32 v54, 0, v2
	v_max_f32_e32 v53, 0, v1
	v_max_f32_e32 v52, 0, v0
	s_and_b64 s[8:9], s[6:7], vcc
	v_lshlrev_b32_e32 v9, 2, v8
	s_mov_b64 s[14:15], exec
.LBB3_31:                               ; =>This Inner Loop Header: Depth=1
	v_readfirstlane_b32 s16, v18
	v_readfirstlane_b32 s17, v19
	v_readfirstlane_b32 s18, v20
	v_readfirstlane_b32 s19, v21
	v_cmp_eq_u64_e64 s[10:11], s[16:17], v[18:19]
	v_cmp_eq_u64_e64 s[12:13], s[18:19], v[20:21]
	s_and_b64 s[10:11], s[10:11], s[12:13]
	s_and_saveexec_b64 s[10:11], s[10:11]
	s_nop 0
	buffer_load_dwordx4 v[0:3], v9, s[16:19], 0 offen
                                        ; implicit-def: $vgpr9
	s_xor_b64 exec, exec, s[10:11]
	s_cbranch_execnz .LBB3_31
; %bb.32:
	s_mov_b64 exec, s[14:15]
	s_waitcnt vmcnt(0)
	v_cndmask_b32_e64 v3, 0, v3, s[8:9]
	v_cndmask_b32_e64 v2, 0, v2, s[8:9]
	v_cndmask_b32_e64 v1, 0, v1, s[8:9]
	v_cndmask_b32_e64 v0, 0, v0, s[8:9]
	v_pk_add_f32 v[0:1], v[76:77], v[0:1]
	v_pk_add_f32 v[2:3], v[74:75], v[2:3]
	v_max_f32_e32 v25, 0, v3
	v_max_f32_e32 v24, 0, v2
	v_max_f32_e32 v23, 0, v1
	v_max_f32_e32 v22, 0, v0
	s_and_b64 s[6:7], s[6:7], s[4:5]
	v_add_lshl_u32 v9, v8, v5, 2
	s_mov_b64 s[16:17], exec
.LBB3_33:                               ; =>This Inner Loop Header: Depth=1
	v_readfirstlane_b32 s12, v18
	v_readfirstlane_b32 s13, v19
	v_readfirstlane_b32 s14, v20
	v_readfirstlane_b32 s15, v21
	v_cmp_eq_u64_e64 s[8:9], s[12:13], v[18:19]
	v_cmp_eq_u64_e64 s[10:11], s[14:15], v[20:21]
	s_and_b64 s[8:9], s[8:9], s[10:11]
	s_and_saveexec_b64 s[8:9], s[8:9]
	s_nop 0
	buffer_load_dwordx4 v[0:3], v9, s[12:15], 0 offen
                                        ; implicit-def: $vgpr9
	s_xor_b64 exec, exec, s[8:9]
	s_cbranch_execnz .LBB3_33
; %bb.34:
	s_mov_b64 exec, s[16:17]
	s_waitcnt vmcnt(0)
	v_cndmask_b32_e64 v3, 0, v3, s[6:7]
	v_cndmask_b32_e64 v2, 0, v2, s[6:7]
	v_cndmask_b32_e64 v1, 0, v1, s[6:7]
	v_cndmask_b32_e64 v0, 0, v0, s[6:7]
	v_or_b32_e32 v74, 2, v78
	v_pk_add_f32 v[0:1], v[82:83], v[0:1]
	v_pk_add_f32 v[2:3], v[80:81], v[2:3]
	v_add_u32_e32 v8, v8, v38
	v_cmp_gt_i32_e64 s[6:7], v4, v74
	v_max_f32_e32 v83, 0, v3
	v_max_f32_e32 v82, 0, v2
	v_max_f32_e32 v81, 0, v1
	v_max_f32_e32 v80, 0, v0
	s_and_b64 s[8:9], s[6:7], vcc
	v_lshlrev_b32_e32 v9, 2, v8
	s_mov_b64 s[14:15], exec
.LBB3_35:                               ; =>This Inner Loop Header: Depth=1
	v_readfirstlane_b32 s16, v18
	v_readfirstlane_b32 s17, v19
	v_readfirstlane_b32 s18, v20
	v_readfirstlane_b32 s19, v21
	v_cmp_eq_u64_e64 s[10:11], s[16:17], v[18:19]
	v_cmp_eq_u64_e64 s[12:13], s[18:19], v[20:21]
	s_and_b64 s[10:11], s[10:11], s[12:13]
	s_and_saveexec_b64 s[10:11], s[10:11]
	s_nop 0
	buffer_load_dwordx4 v[0:3], v9, s[16:19], 0 offen
                                        ; implicit-def: $vgpr9
	s_xor_b64 exec, exec, s[10:11]
	s_cbranch_execnz .LBB3_35
; %bb.36:
	s_mov_b64 exec, s[14:15]
	s_waitcnt vmcnt(0)
	v_cndmask_b32_e64 v3, 0, v3, s[8:9]
	v_cndmask_b32_e64 v2, 0, v2, s[8:9]
	v_cndmask_b32_e64 v1, 0, v1, s[8:9]
	v_cndmask_b32_e64 v0, 0, v0, s[8:9]
	v_pk_add_f32 v[0:1], v[66:67], v[0:1]
	v_pk_add_f32 v[2:3], v[64:65], v[2:3]
	;; [unrolled: 63-line block ×3, first 2 shown]
	v_max_f32_e32 v37, 0, v3
	v_max_f32_e32 v36, 0, v2
	;; [unrolled: 1-line block ×4, first 2 shown]
	s_and_b64 s[6:7], s[6:7], s[4:5]
	v_add_lshl_u32 v9, v8, v5, 2
	s_mov_b64 s[16:17], exec
.LBB3_41:                               ; =>This Inner Loop Header: Depth=1
	v_readfirstlane_b32 s12, v18
	v_readfirstlane_b32 s13, v19
	;; [unrolled: 1-line block ×4, first 2 shown]
	v_cmp_eq_u64_e64 s[8:9], s[12:13], v[18:19]
	v_cmp_eq_u64_e64 s[10:11], s[14:15], v[20:21]
	s_and_b64 s[8:9], s[8:9], s[10:11]
	s_and_saveexec_b64 s[8:9], s[8:9]
	s_nop 0
	buffer_load_dwordx4 v[0:3], v9, s[12:15], 0 offen
                                        ; implicit-def: $vgpr9
	s_xor_b64 exec, exec, s[8:9]
	s_cbranch_execnz .LBB3_41
; %bb.42:
	s_mov_b64 exec, s[16:17]
	s_waitcnt vmcnt(0)
	v_cndmask_b32_e64 v3, 0, v3, s[6:7]
	v_cndmask_b32_e64 v2, 0, v2, s[6:7]
	;; [unrolled: 1-line block ×4, first 2 shown]
	v_add_u32_e32 v39, 64, v78
	v_mad_u64_u32 v[26:27], s[6:7], v38, 61, v[8:9]
	v_pk_add_f32 v[0:1], v[86:87], v[0:1]
	v_pk_add_f32 v[2:3], v[84:85], v[2:3]
	v_cmp_gt_i32_e64 s[6:7], v4, v39
	v_max_f32_e32 v87, 0, v3
	v_max_f32_e32 v86, 0, v2
	;; [unrolled: 1-line block ×4, first 2 shown]
	s_and_b64 s[8:9], s[6:7], vcc
	v_lshlrev_b32_e32 v8, 2, v26
	s_mov_b64 s[14:15], exec
.LBB3_43:                               ; =>This Inner Loop Header: Depth=1
	v_readfirstlane_b32 s16, v18
	v_readfirstlane_b32 s17, v19
	;; [unrolled: 1-line block ×4, first 2 shown]
	v_cmp_eq_u64_e64 s[10:11], s[16:17], v[18:19]
	v_cmp_eq_u64_e64 s[12:13], s[18:19], v[20:21]
	s_and_b64 s[10:11], s[10:11], s[12:13]
	s_and_saveexec_b64 s[10:11], s[10:11]
	s_nop 0
	buffer_load_dwordx4 v[0:3], v8, s[16:19], 0 offen
                                        ; implicit-def: $vgpr8
	s_xor_b64 exec, exec, s[10:11]
	s_cbranch_execnz .LBB3_43
; %bb.44:
	s_mov_b64 exec, s[14:15]
	s_waitcnt vmcnt(0)
	v_cndmask_b32_e64 v3, 0, v3, s[8:9]
	v_cndmask_b32_e64 v2, 0, v2, s[8:9]
	;; [unrolled: 1-line block ×4, first 2 shown]
	v_pk_add_f32 v[0:1], v[60:61], v[0:1]
	v_pk_add_f32 v[2:3], v[58:59], v[2:3]
	v_max_f32_e32 v3, 0, v3
	v_max_f32_e32 v2, 0, v2
	;; [unrolled: 1-line block ×4, first 2 shown]
	s_and_b64 s[6:7], s[6:7], s[4:5]
	v_add_lshl_u32 v12, v26, v5, 2
	s_mov_b64 s[16:17], exec
.LBB3_45:                               ; =>This Inner Loop Header: Depth=1
	v_readfirstlane_b32 s12, v18
	v_readfirstlane_b32 s13, v19
	;; [unrolled: 1-line block ×4, first 2 shown]
	v_cmp_eq_u64_e64 s[8:9], s[12:13], v[18:19]
	v_cmp_eq_u64_e64 s[10:11], s[14:15], v[20:21]
	s_and_b64 s[8:9], s[8:9], s[10:11]
	s_and_saveexec_b64 s[8:9], s[8:9]
	s_nop 0
	buffer_load_dwordx4 v[8:11], v12, s[12:15], 0 offen
                                        ; implicit-def: $vgpr12
	s_xor_b64 exec, exec, s[8:9]
	s_cbranch_execnz .LBB3_45
; %bb.46:
	s_mov_b64 exec, s[16:17]
	s_waitcnt vmcnt(0)
	v_cndmask_b32_e64 v11, 0, v11, s[6:7]
	v_cndmask_b32_e64 v10, 0, v10, s[6:7]
	;; [unrolled: 1-line block ×4, first 2 shown]
	v_pk_add_f32 v[8:9], v[56:57], v[8:9]
	v_pk_add_f32 v[10:11], v[46:47], v[10:11]
	v_add_u32_e32 v46, 0x41, v78
	v_max_f32_e32 v12, 0, v10
	v_max_f32_e32 v10, 0, v8
	v_add_u32_e32 v8, v26, v38
	v_cmp_gt_i32_e64 s[6:7], v4, v46
	v_max_f32_e32 v13, 0, v11
	v_max_f32_e32 v11, 0, v9
	s_and_b64 s[8:9], s[6:7], vcc
	v_lshlrev_b32_e32 v9, 2, v8
	s_mov_b64 s[14:15], exec
.LBB3_47:                               ; =>This Inner Loop Header: Depth=1
	v_readfirstlane_b32 s16, v18
	v_readfirstlane_b32 s17, v19
	v_readfirstlane_b32 s18, v20
	v_readfirstlane_b32 s19, v21
	v_cmp_eq_u64_e64 s[10:11], s[16:17], v[18:19]
	v_cmp_eq_u64_e64 s[12:13], s[18:19], v[20:21]
	s_and_b64 s[10:11], s[10:11], s[12:13]
	s_and_saveexec_b64 s[10:11], s[10:11]
	s_nop 0
	buffer_load_dwordx4 v[26:29], v9, s[16:19], 0 offen
                                        ; implicit-def: $vgpr9
	s_xor_b64 exec, exec, s[10:11]
	s_cbranch_execnz .LBB3_47
; %bb.48:
	s_mov_b64 exec, s[14:15]
	s_waitcnt vmcnt(0)
	v_cndmask_b32_e64 v29, 0, v29, s[8:9]
	v_cndmask_b32_e64 v28, 0, v28, s[8:9]
	;; [unrolled: 1-line block ×4, first 2 shown]
	v_pk_add_f32 v[26:27], v[44:45], v[26:27]
	v_pk_add_f32 v[28:29], v[42:43], v[28:29]
	v_max_f32_e32 v29, 0, v29
	v_max_f32_e32 v28, 0, v28
	;; [unrolled: 1-line block ×4, first 2 shown]
	s_and_b64 s[6:7], s[6:7], s[4:5]
	v_add_lshl_u32 v9, v8, v5, 2
	s_mov_b64 s[16:17], exec
.LBB3_49:                               ; =>This Inner Loop Header: Depth=1
	v_readfirstlane_b32 s12, v18
	v_readfirstlane_b32 s13, v19
	;; [unrolled: 1-line block ×4, first 2 shown]
	v_cmp_eq_u64_e64 s[8:9], s[12:13], v[18:19]
	v_cmp_eq_u64_e64 s[10:11], s[14:15], v[20:21]
	s_and_b64 s[8:9], s[8:9], s[10:11]
	s_and_saveexec_b64 s[8:9], s[8:9]
	s_nop 0
	buffer_load_dwordx4 v[30:33], v9, s[12:15], 0 offen
                                        ; implicit-def: $vgpr9
	s_xor_b64 exec, exec, s[8:9]
	s_cbranch_execnz .LBB3_49
; %bb.50:
	s_mov_b64 exec, s[16:17]
	s_waitcnt vmcnt(0)
	v_cndmask_b32_e64 v33, 0, v33, s[6:7]
	v_cndmask_b32_e64 v32, 0, v32, s[6:7]
	;; [unrolled: 1-line block ×4, first 2 shown]
	v_add_u32_e32 v42, 0x42, v78
	v_pk_add_f32 v[30:31], v[98:99], v[30:31]
	v_pk_add_f32 v[32:33], v[96:97], v[32:33]
	v_add_u32_e32 v8, v8, v38
	v_cmp_gt_i32_e64 s[6:7], v4, v42
	v_max_f32_e32 v33, 0, v33
	v_max_f32_e32 v32, 0, v32
	;; [unrolled: 1-line block ×4, first 2 shown]
	s_and_b64 s[8:9], s[6:7], vcc
	v_lshlrev_b32_e32 v9, 2, v8
	s_mov_b64 s[14:15], exec
.LBB3_51:                               ; =>This Inner Loop Header: Depth=1
	v_readfirstlane_b32 s16, v18
	v_readfirstlane_b32 s17, v19
	;; [unrolled: 1-line block ×4, first 2 shown]
	v_cmp_eq_u64_e64 s[10:11], s[16:17], v[18:19]
	v_cmp_eq_u64_e64 s[12:13], s[18:19], v[20:21]
	s_and_b64 s[10:11], s[10:11], s[12:13]
	s_and_saveexec_b64 s[10:11], s[10:11]
	s_nop 0
	buffer_load_dwordx4 v[96:99], v9, s[16:19], 0 offen
                                        ; implicit-def: $vgpr9
	s_xor_b64 exec, exec, s[10:11]
	s_cbranch_execnz .LBB3_51
; %bb.52:
	s_mov_b64 exec, s[14:15]
	s_waitcnt vmcnt(0)
	v_cndmask_b32_e64 v99, 0, v99, s[8:9]
	v_cndmask_b32_e64 v98, 0, v98, s[8:9]
	;; [unrolled: 1-line block ×4, first 2 shown]
	v_pk_add_f32 v[96:97], v[102:103], v[96:97]
	v_pk_add_f32 v[98:99], v[100:101], v[98:99]
	v_max_f32_e32 v99, 0, v99
	v_max_f32_e32 v98, 0, v98
	;; [unrolled: 1-line block ×4, first 2 shown]
	s_and_b64 s[6:7], s[6:7], s[4:5]
	v_add_lshl_u32 v9, v8, v5, 2
	s_mov_b64 s[16:17], exec
.LBB3_53:                               ; =>This Inner Loop Header: Depth=1
	v_readfirstlane_b32 s12, v18
	v_readfirstlane_b32 s13, v19
	;; [unrolled: 1-line block ×4, first 2 shown]
	v_cmp_eq_u64_e64 s[8:9], s[12:13], v[18:19]
	v_cmp_eq_u64_e64 s[10:11], s[14:15], v[20:21]
	s_and_b64 s[8:9], s[8:9], s[10:11]
	s_and_saveexec_b64 s[8:9], s[8:9]
	s_nop 0
	buffer_load_dwordx4 v[100:103], v9, s[12:15], 0 offen
                                        ; implicit-def: $vgpr9
	s_xor_b64 exec, exec, s[8:9]
	s_cbranch_execnz .LBB3_53
; %bb.54:
	s_mov_b64 exec, s[16:17]
	s_waitcnt vmcnt(0)
	v_cndmask_b32_e64 v103, 0, v103, s[6:7]
	v_cndmask_b32_e64 v102, 0, v102, s[6:7]
	;; [unrolled: 1-line block ×4, first 2 shown]
	v_add_u32_e32 v43, 0x43, v78
	v_pk_add_f32 v[100:101], v[114:115], v[100:101]
	v_pk_add_f32 v[102:103], v[112:113], v[102:103]
	v_add_u32_e32 v8, v8, v38
	v_cmp_gt_i32_e64 s[6:7], v4, v43
	v_max_f32_e32 v103, 0, v103
	v_max_f32_e32 v102, 0, v102
	;; [unrolled: 1-line block ×4, first 2 shown]
	s_and_b64 vcc, s[6:7], vcc
	v_lshlrev_b32_e32 v4, 2, v8
	s_mov_b64 s[16:17], exec
.LBB3_55:                               ; =>This Inner Loop Header: Depth=1
	v_readfirstlane_b32 s12, v18
	v_readfirstlane_b32 s13, v19
	;; [unrolled: 1-line block ×4, first 2 shown]
	v_cmp_eq_u64_e64 s[8:9], s[12:13], v[18:19]
	v_cmp_eq_u64_e64 s[10:11], s[14:15], v[20:21]
	s_and_b64 s[8:9], s[8:9], s[10:11]
	s_and_saveexec_b64 s[8:9], s[8:9]
	s_nop 0
	buffer_load_dwordx4 v[112:115], v4, s[12:15], 0 offen
                                        ; implicit-def: $vgpr4
	s_xor_b64 exec, exec, s[8:9]
	s_cbranch_execnz .LBB3_55
; %bb.56:
	s_mov_b64 exec, s[16:17]
	s_waitcnt vmcnt(0)
	v_cndmask_b32_e32 v115, 0, v115, vcc
	v_cndmask_b32_e32 v114, 0, v114, vcc
	;; [unrolled: 1-line block ×4, first 2 shown]
	v_pk_add_f32 v[112:113], v[118:119], v[112:113]
	v_pk_add_f32 v[114:115], v[116:117], v[114:115]
	v_max_f32_e32 v115, 0, v115
	v_max_f32_e32 v114, 0, v114
	;; [unrolled: 1-line block ×4, first 2 shown]
	s_and_b64 vcc, s[6:7], s[4:5]
	v_add_lshl_u32 v4, v8, v5, 2
	s_mov_b64 s[12:13], exec
.LBB3_57:                               ; =>This Inner Loop Header: Depth=1
	v_readfirstlane_b32 s8, v18
	v_readfirstlane_b32 s9, v19
	;; [unrolled: 1-line block ×4, first 2 shown]
	v_cmp_eq_u64_e64 s[4:5], s[8:9], v[18:19]
	v_cmp_eq_u64_e64 s[6:7], s[10:11], v[20:21]
	s_and_b64 s[4:5], s[4:5], s[6:7]
	s_and_saveexec_b64 s[4:5], s[4:5]
	s_nop 0
	buffer_load_dwordx4 v[116:119], v4, s[8:11], 0 offen
                                        ; implicit-def: $vgpr18_vgpr19_vgpr20_vgpr21
                                        ; implicit-def: $vgpr4
	s_xor_b64 exec, exec, s[4:5]
	s_cbranch_execnz .LBB3_57
; %bb.58:
	s_mov_b64 exec, s[12:13]
	v_accvgpr_read_b32 v9, a1
	v_accvgpr_read_b32 v8, a0
	flat_load_dwordx2 v[4:5], v[8:9] offset:8
	flat_load_dword v38, v[8:9] offset:32
	flat_load_dword v44, v[8:9] offset:20
	s_waitcnt vmcnt(0)
	v_cndmask_b32_e32 v19, 0, v119, vcc
	v_cndmask_b32_e32 v18, 0, v118, vcc
	;; [unrolled: 1-line block ×4, first 2 shown]
	v_bfrev_b32_e32 v116, 1
	v_accvgpr_read_b32 v8, a2
	v_pk_add_f32 v[16:17], v[16:17], v[20:21]
	v_pk_add_f32 v[18:19], v[40:41], v[18:19]
	v_lshlrev_b32_e32 v8, 2, v8
	v_mov_b32_e32 v9, 0x20000
	v_max_f32_e32 v19, 0, v19
	v_max_f32_e32 v18, 0, v18
	;; [unrolled: 1-line block ×4, first 2 shown]
	s_waitcnt lgkmcnt(0)
	v_mul_lo_u32 v4, v4, v78
	v_cmp_gt_i32_e32 vcc, v38, v14
	v_cmp_gt_i32_e64 s[4:5], v44, v78
	v_mad_u64_u32 v[4:5], s[6:7], v5, v14, v[4:5]
	s_and_b64 s[4:5], s[4:5], vcc
	v_cndmask_b32_e64 v5, v116, 0, s[4:5]
	v_lshl_add_u32 v5, v4, 2, v5
	s_mov_b64 s[6:7], exec
.LBB3_59:                               ; =>This Inner Loop Header: Depth=1
	v_readfirstlane_b32 s8, v6
	v_readfirstlane_b32 s9, v7
	;; [unrolled: 1-line block ×4, first 2 shown]
	v_cmp_eq_u64_e32 vcc, s[8:9], v[6:7]
	v_cmp_eq_u64_e64 s[4:5], s[10:11], v[8:9]
	s_and_b64 s[4:5], vcc, s[4:5]
	s_and_saveexec_b64 s[4:5], s[4:5]
	s_nop 0
	buffer_store_dwordx4 v[48:51], v5, s[8:11], 0 offen
                                        ; implicit-def: $vgpr48_vgpr49_vgpr50_vgpr51
                                        ; implicit-def: $vgpr5
	s_xor_b64 exec, exec, s[4:5]
	s_cbranch_execnz .LBB3_59
; %bb.60:
	s_mov_b64 exec, s[6:7]
	v_accvgpr_read_b32 v49, a1
	v_accvgpr_read_b32 v48, a0
	flat_load_dword v5, v[48:49] offset:12
	flat_load_dword v20, v[48:49] offset:32
	;; [unrolled: 1-line block ×3, first 2 shown]
	v_bfrev_b32_e32 v38, 1
	s_mov_b64 s[6:7], exec
	s_waitcnt vmcnt(0) lgkmcnt(0)
	v_lshl_add_u32 v4, v5, 6, v4
	v_cmp_gt_i32_e32 vcc, v20, v15
	v_cmp_gt_i32_e64 s[4:5], v21, v78
	s_and_b64 s[4:5], s[4:5], vcc
	v_cndmask_b32_e64 v5, v38, 0, s[4:5]
	v_lshl_add_u32 v5, v4, 2, v5
.LBB3_61:                               ; =>This Inner Loop Header: Depth=1
	v_readfirstlane_b32 s8, v6
	v_readfirstlane_b32 s9, v7
	;; [unrolled: 1-line block ×4, first 2 shown]
	v_cmp_eq_u64_e32 vcc, s[8:9], v[6:7]
	v_cmp_eq_u64_e64 s[4:5], s[10:11], v[8:9]
	s_and_b64 s[4:5], vcc, s[4:5]
	s_and_saveexec_b64 s[4:5], s[4:5]
	s_nop 0
	buffer_store_dwordx4 v[52:55], v5, s[8:11], 0 offen
                                        ; implicit-def: $vgpr52_vgpr53_vgpr54_vgpr55
                                        ; implicit-def: $vgpr5
	s_xor_b64 exec, exec, s[4:5]
	s_cbranch_execnz .LBB3_61
; %bb.62:
	s_mov_b64 exec, s[6:7]
	flat_load_dword v5, v[48:49] offset:8
	flat_load_dword v20, v[48:49] offset:32
	;; [unrolled: 1-line block ×3, first 2 shown]
	v_bfrev_b32_e32 v38, 1
	s_mov_b64 s[6:7], exec
	s_waitcnt vmcnt(0) lgkmcnt(0)
	v_add_u32_e32 v4, v5, v4
	v_cmp_gt_i32_e32 vcc, v20, v15
	v_cmp_gt_i32_e64 s[4:5], v21, v79
	s_and_b64 s[4:5], s[4:5], vcc
	v_cndmask_b32_e64 v5, v38, 0, s[4:5]
	v_lshl_add_u32 v5, v4, 2, v5
.LBB3_63:                               ; =>This Inner Loop Header: Depth=1
	v_readfirstlane_b32 s8, v6
	v_readfirstlane_b32 s9, v7
	;; [unrolled: 1-line block ×4, first 2 shown]
	v_cmp_eq_u64_e32 vcc, s[8:9], v[6:7]
	v_cmp_eq_u64_e64 s[4:5], s[10:11], v[8:9]
	s_and_b64 s[4:5], vcc, s[4:5]
	s_and_saveexec_b64 s[4:5], s[4:5]
	s_nop 0
	buffer_store_dwordx4 v[80:83], v5, s[8:11], 0 offen
                                        ; implicit-def: $vgpr80_vgpr81_vgpr82_vgpr83
                                        ; implicit-def: $vgpr5
	s_xor_b64 exec, exec, s[4:5]
	s_cbranch_execnz .LBB3_63
; %bb.64:
	s_mov_b64 exec, s[6:7]
	flat_load_dword v5, v[48:49] offset:12
	flat_load_dword v20, v[48:49] offset:32
	;; [unrolled: 1-line block ×3, first 2 shown]
	v_bfrev_b32_e32 v38, 1
	s_mov_b64 s[6:7], exec
	s_waitcnt vmcnt(0) lgkmcnt(0)
	v_lshlrev_b32_e32 v5, 6, v5
	v_cmp_gt_i32_e32 vcc, v20, v14
	v_cmp_gt_i32_e64 s[4:5], v21, v79
	s_and_b64 s[4:5], s[4:5], vcc
	v_sub_u32_e32 v4, v4, v5
	v_cndmask_b32_e64 v5, v38, 0, s[4:5]
	v_lshl_add_u32 v5, v4, 2, v5
.LBB3_65:                               ; =>This Inner Loop Header: Depth=1
	v_readfirstlane_b32 s8, v6
	v_readfirstlane_b32 s9, v7
	;; [unrolled: 1-line block ×4, first 2 shown]
	v_cmp_eq_u64_e32 vcc, s[8:9], v[6:7]
	v_cmp_eq_u64_e64 s[4:5], s[10:11], v[8:9]
	s_and_b64 s[4:5], vcc, s[4:5]
	s_and_saveexec_b64 s[4:5], s[4:5]
	s_nop 0
	buffer_store_dwordx4 v[22:25], v5, s[8:11], 0 offen
                                        ; implicit-def: $vgpr22_vgpr23_vgpr24_vgpr25
                                        ; implicit-def: $vgpr5
	s_xor_b64 exec, exec, s[4:5]
	s_cbranch_execnz .LBB3_65
; %bb.66:
	s_mov_b64 exec, s[6:7]
	flat_load_dword v5, v[48:49] offset:8
	flat_load_dword v20, v[48:49] offset:32
	;; [unrolled: 1-line block ×3, first 2 shown]
	v_bfrev_b32_e32 v22, 1
	s_mov_b64 s[6:7], exec
	s_waitcnt vmcnt(0) lgkmcnt(0)
	v_add_u32_e32 v4, v5, v4
	v_cmp_gt_i32_e32 vcc, v20, v14
	v_cmp_gt_i32_e64 s[4:5], v21, v74
	s_and_b64 s[4:5], s[4:5], vcc
	v_cndmask_b32_e64 v5, v22, 0, s[4:5]
	v_lshl_add_u32 v5, v4, 2, v5
.LBB3_67:                               ; =>This Inner Loop Header: Depth=1
	v_readfirstlane_b32 s8, v6
	v_readfirstlane_b32 s9, v7
	;; [unrolled: 1-line block ×4, first 2 shown]
	v_cmp_eq_u64_e32 vcc, s[8:9], v[6:7]
	v_cmp_eq_u64_e64 s[4:5], s[10:11], v[8:9]
	s_and_b64 s[4:5], vcc, s[4:5]
	s_and_saveexec_b64 s[4:5], s[4:5]
	s_nop 0
	buffer_store_dwordx4 v[64:67], v5, s[8:11], 0 offen
                                        ; implicit-def: $vgpr64_vgpr65_vgpr66_vgpr67
                                        ; implicit-def: $vgpr5
	s_xor_b64 exec, exec, s[4:5]
	s_cbranch_execnz .LBB3_67
; %bb.68:
	s_mov_b64 exec, s[6:7]
	flat_load_dword v5, v[48:49] offset:12
	flat_load_dword v20, v[48:49] offset:32
	;; [unrolled: 1-line block ×3, first 2 shown]
	v_bfrev_b32_e32 v22, 1
	s_mov_b64 s[6:7], exec
	s_waitcnt vmcnt(0) lgkmcnt(0)
	v_lshl_add_u32 v4, v5, 6, v4
	v_cmp_gt_i32_e32 vcc, v20, v15
	v_cmp_gt_i32_e64 s[4:5], v21, v74
	s_and_b64 s[4:5], s[4:5], vcc
	v_cndmask_b32_e64 v5, v22, 0, s[4:5]
	v_lshl_add_u32 v5, v4, 2, v5
.LBB3_69:                               ; =>This Inner Loop Header: Depth=1
	v_readfirstlane_b32 s8, v6
	v_readfirstlane_b32 s9, v7
	v_readfirstlane_b32 s10, v8
	v_readfirstlane_b32 s11, v9
	v_cmp_eq_u64_e32 vcc, s[8:9], v[6:7]
	v_cmp_eq_u64_e64 s[4:5], s[10:11], v[8:9]
	s_and_b64 s[4:5], vcc, s[4:5]
	s_and_saveexec_b64 s[4:5], s[4:5]
	s_nop 0
	buffer_store_dwordx4 v[68:71], v5, s[8:11], 0 offen
                                        ; implicit-def: $vgpr68_vgpr69_vgpr70_vgpr71
                                        ; implicit-def: $vgpr5
	s_xor_b64 exec, exec, s[4:5]
	s_cbranch_execnz .LBB3_69
; %bb.70:
	s_mov_b64 exec, s[6:7]
	flat_load_dword v5, v[48:49] offset:8
	flat_load_dword v20, v[48:49] offset:32
	;; [unrolled: 1-line block ×3, first 2 shown]
	v_bfrev_b32_e32 v22, 1
	s_mov_b64 s[6:7], exec
	s_waitcnt vmcnt(0) lgkmcnt(0)
	v_add_u32_e32 v4, v5, v4
	v_cmp_gt_i32_e32 vcc, v20, v15
	v_cmp_gt_i32_e64 s[4:5], v21, v75
	s_and_b64 s[4:5], s[4:5], vcc
	v_cndmask_b32_e64 v5, v22, 0, s[4:5]
	v_lshl_add_u32 v5, v4, 2, v5
.LBB3_71:                               ; =>This Inner Loop Header: Depth=1
	v_readfirstlane_b32 s8, v6
	v_readfirstlane_b32 s9, v7
	;; [unrolled: 1-line block ×4, first 2 shown]
	v_cmp_eq_u64_e32 vcc, s[8:9], v[6:7]
	v_cmp_eq_u64_e64 s[4:5], s[10:11], v[8:9]
	s_and_b64 s[4:5], vcc, s[4:5]
	s_and_saveexec_b64 s[4:5], s[4:5]
	s_nop 0
	buffer_store_dwordx4 v[84:87], v5, s[8:11], 0 offen
                                        ; implicit-def: $vgpr84_vgpr85_vgpr86_vgpr87
                                        ; implicit-def: $vgpr5
	s_xor_b64 exec, exec, s[4:5]
	s_cbranch_execnz .LBB3_71
; %bb.72:
	s_mov_b64 exec, s[6:7]
	flat_load_dword v5, v[48:49] offset:12
	flat_load_dword v20, v[48:49] offset:32
	;; [unrolled: 1-line block ×3, first 2 shown]
	v_bfrev_b32_e32 v22, 1
	s_mov_b64 s[6:7], exec
	s_waitcnt vmcnt(0) lgkmcnt(0)
	v_lshlrev_b32_e32 v5, 6, v5
	v_cmp_gt_i32_e32 vcc, v20, v14
	v_cmp_gt_i32_e64 s[4:5], v21, v75
	v_sub_u32_e32 v4, v4, v5
	s_and_b64 s[4:5], s[4:5], vcc
	v_cndmask_b32_e64 v5, v22, 0, s[4:5]
	v_lshlrev_b32_e32 v20, 2, v4
	v_add_u32_e32 v5, v5, v20
.LBB3_73:                               ; =>This Inner Loop Header: Depth=1
	v_readfirstlane_b32 s8, v6
	v_readfirstlane_b32 s9, v7
	;; [unrolled: 1-line block ×4, first 2 shown]
	v_cmp_eq_u64_e32 vcc, s[8:9], v[6:7]
	v_cmp_eq_u64_e64 s[4:5], s[10:11], v[8:9]
	s_and_b64 s[4:5], vcc, s[4:5]
	s_and_saveexec_b64 s[4:5], s[4:5]
	s_nop 0
	buffer_store_dwordx4 v[34:37], v5, s[8:11], 0 offen
                                        ; implicit-def: $vgpr34_vgpr35_vgpr36_vgpr37
                                        ; implicit-def: $vgpr5
	s_xor_b64 exec, exec, s[4:5]
	s_cbranch_execnz .LBB3_73
; %bb.74:
	s_mov_b64 exec, s[6:7]
	flat_load_dword v21, v[48:49] offset:32
	flat_load_dword v22, v[48:49] offset:20
	;; [unrolled: 1-line block ×3, first 2 shown]
	v_bfrev_b32_e32 v23, 1
	s_mov_b64 s[6:7], exec
	s_waitcnt vmcnt(0) lgkmcnt(0)
	v_cmp_gt_i32_e32 vcc, v21, v14
	v_cmp_gt_i32_e64 s[4:5], v22, v43
	s_and_b64 s[4:5], s[4:5], vcc
	v_lshlrev_b32_e32 v21, 8, v5
	v_cndmask_b32_e64 v22, v23, 0, s[4:5]
	v_add3_u32 v20, v21, v20, v22
.LBB3_75:                               ; =>This Inner Loop Header: Depth=1
	v_readfirstlane_b32 s8, v6
	v_readfirstlane_b32 s9, v7
	;; [unrolled: 1-line block ×4, first 2 shown]
	v_cmp_eq_u64_e32 vcc, s[8:9], v[6:7]
	v_cmp_eq_u64_e64 s[4:5], s[10:11], v[8:9]
	s_and_b64 s[4:5], vcc, s[4:5]
	s_and_saveexec_b64 s[4:5], s[4:5]
	s_nop 0
	buffer_store_dwordx4 v[112:115], v20, s[8:11], 0 offen
                                        ; implicit-def: $vgpr112_vgpr113_vgpr114_vgpr115
                                        ; implicit-def: $vgpr20
	s_xor_b64 exec, exec, s[4:5]
	s_cbranch_execnz .LBB3_75
; %bb.76:
	s_mov_b64 exec, s[6:7]
	flat_load_dword v20, v[48:49] offset:12
	flat_load_dword v21, v[48:49] offset:32
	;; [unrolled: 1-line block ×3, first 2 shown]
	v_bfrev_b32_e32 v23, 1
	s_mov_b64 s[6:7], exec
	s_waitcnt vmcnt(0) lgkmcnt(0)
	v_add_u32_e32 v5, v20, v5
	v_cmp_gt_i32_e32 vcc, v21, v15
	v_cmp_gt_i32_e64 s[4:5], v22, v43
	s_and_b64 s[4:5], s[4:5], vcc
	v_lshl_add_u32 v4, v5, 6, v4
	v_cndmask_b32_e64 v5, v23, 0, s[4:5]
	v_lshl_add_u32 v5, v4, 2, v5
.LBB3_77:                               ; =>This Inner Loop Header: Depth=1
	v_readfirstlane_b32 s8, v6
	v_readfirstlane_b32 s9, v7
	v_readfirstlane_b32 s10, v8
	v_readfirstlane_b32 s11, v9
	v_cmp_eq_u64_e32 vcc, s[8:9], v[6:7]
	v_cmp_eq_u64_e64 s[4:5], s[10:11], v[8:9]
	s_and_b64 s[4:5], vcc, s[4:5]
	s_and_saveexec_b64 s[4:5], s[4:5]
	s_nop 0
	buffer_store_dwordx4 v[16:19], v5, s[8:11], 0 offen
                                        ; implicit-def: $vgpr16_vgpr17_vgpr18_vgpr19
                                        ; implicit-def: $vgpr5
	s_xor_b64 exec, exec, s[4:5]
	s_cbranch_execnz .LBB3_77
; %bb.78:
	s_mov_b64 exec, s[6:7]
	flat_load_dword v5, v[48:49] offset:8
	flat_load_dword v16, v[48:49] offset:32
	;; [unrolled: 1-line block ×3, first 2 shown]
	v_bfrev_b32_e32 v18, 1
	s_mov_b64 s[6:7], exec
	s_waitcnt vmcnt(0) lgkmcnt(0)
	v_sub_u32_e32 v4, v4, v5
	v_cmp_gt_i32_e32 vcc, v16, v15
	v_cmp_ge_i32_e64 s[4:5], v17, v43
	s_and_b64 s[4:5], s[4:5], vcc
	v_cndmask_b32_e64 v5, v18, 0, s[4:5]
	v_lshl_add_u32 v5, v4, 2, v5
.LBB3_79:                               ; =>This Inner Loop Header: Depth=1
	v_readfirstlane_b32 s8, v6
	v_readfirstlane_b32 s9, v7
	;; [unrolled: 1-line block ×4, first 2 shown]
	v_cmp_eq_u64_e32 vcc, s[8:9], v[6:7]
	v_cmp_eq_u64_e64 s[4:5], s[10:11], v[8:9]
	s_and_b64 s[4:5], vcc, s[4:5]
	s_and_saveexec_b64 s[4:5], s[4:5]
	s_nop 0
	buffer_store_dwordx4 v[100:103], v5, s[8:11], 0 offen
                                        ; implicit-def: $vgpr100_vgpr101_vgpr102_vgpr103
                                        ; implicit-def: $vgpr5
	s_xor_b64 exec, exec, s[4:5]
	s_cbranch_execnz .LBB3_79
; %bb.80:
	s_mov_b64 exec, s[6:7]
	flat_load_dword v5, v[48:49] offset:12
	flat_load_dword v16, v[48:49] offset:32
	;; [unrolled: 1-line block ×3, first 2 shown]
	v_bfrev_b32_e32 v18, 1
	s_mov_b64 s[6:7], exec
	s_waitcnt vmcnt(0) lgkmcnt(0)
	v_lshlrev_b32_e32 v5, 6, v5
	v_cmp_gt_i32_e32 vcc, v16, v14
	v_cmp_gt_i32_e64 s[4:5], v17, v42
	s_and_b64 s[4:5], s[4:5], vcc
	v_sub_u32_e32 v4, v4, v5
	v_cndmask_b32_e64 v5, v18, 0, s[4:5]
	v_lshl_add_u32 v5, v4, 2, v5
.LBB3_81:                               ; =>This Inner Loop Header: Depth=1
	v_readfirstlane_b32 s8, v6
	v_readfirstlane_b32 s9, v7
	;; [unrolled: 1-line block ×4, first 2 shown]
	v_cmp_eq_u64_e32 vcc, s[8:9], v[6:7]
	v_cmp_eq_u64_e64 s[4:5], s[10:11], v[8:9]
	s_and_b64 s[4:5], vcc, s[4:5]
	s_and_saveexec_b64 s[4:5], s[4:5]
	s_nop 0
	buffer_store_dwordx4 v[96:99], v5, s[8:11], 0 offen
                                        ; implicit-def: $vgpr96_vgpr97_vgpr98_vgpr99
                                        ; implicit-def: $vgpr5
	s_xor_b64 exec, exec, s[4:5]
	s_cbranch_execnz .LBB3_81
; %bb.82:
	s_mov_b64 exec, s[6:7]
	flat_load_dword v5, v[48:49] offset:8
	flat_load_dword v16, v[48:49] offset:32
	;; [unrolled: 1-line block ×3, first 2 shown]
	v_bfrev_b32_e32 v18, 1
	s_mov_b64 s[6:7], exec
	s_waitcnt vmcnt(0) lgkmcnt(0)
	v_sub_u32_e32 v4, v4, v5
	v_cmp_gt_i32_e32 vcc, v16, v14
	v_cmp_ge_i32_e64 s[4:5], v17, v42
	s_and_b64 s[4:5], s[4:5], vcc
	v_cndmask_b32_e64 v5, v18, 0, s[4:5]
	v_lshl_add_u32 v5, v4, 2, v5
.LBB3_83:                               ; =>This Inner Loop Header: Depth=1
	v_readfirstlane_b32 s8, v6
	v_readfirstlane_b32 s9, v7
	;; [unrolled: 1-line block ×4, first 2 shown]
	v_cmp_eq_u64_e32 vcc, s[8:9], v[6:7]
	v_cmp_eq_u64_e64 s[4:5], s[10:11], v[8:9]
	s_and_b64 s[4:5], vcc, s[4:5]
	s_and_saveexec_b64 s[4:5], s[4:5]
	s_nop 0
	buffer_store_dwordx4 v[26:29], v5, s[8:11], 0 offen
                                        ; implicit-def: $vgpr26_vgpr27_vgpr28_vgpr29
                                        ; implicit-def: $vgpr5
	s_xor_b64 exec, exec, s[4:5]
	s_cbranch_execnz .LBB3_83
; %bb.84:
	s_mov_b64 exec, s[6:7]
	flat_load_dword v5, v[48:49] offset:12
	flat_load_dword v16, v[48:49] offset:32
	;; [unrolled: 1-line block ×3, first 2 shown]
	v_bfrev_b32_e32 v18, 1
	s_mov_b64 s[6:7], exec
	s_waitcnt vmcnt(0) lgkmcnt(0)
	v_lshl_add_u32 v4, v5, 6, v4
	v_cmp_gt_i32_e32 vcc, v16, v15
	v_cmp_gt_i32_e64 s[4:5], v17, v46
	s_and_b64 s[4:5], s[4:5], vcc
	v_cndmask_b32_e64 v5, v18, 0, s[4:5]
	v_lshl_add_u32 v5, v4, 2, v5
.LBB3_85:                               ; =>This Inner Loop Header: Depth=1
	v_readfirstlane_b32 s8, v6
	v_readfirstlane_b32 s9, v7
	;; [unrolled: 1-line block ×4, first 2 shown]
	v_cmp_eq_u64_e32 vcc, s[8:9], v[6:7]
	v_cmp_eq_u64_e64 s[4:5], s[10:11], v[8:9]
	s_and_b64 s[4:5], vcc, s[4:5]
	s_and_saveexec_b64 s[4:5], s[4:5]
	s_nop 0
	buffer_store_dwordx4 v[30:33], v5, s[8:11], 0 offen
                                        ; implicit-def: $vgpr30_vgpr31_vgpr32_vgpr33
                                        ; implicit-def: $vgpr5
	s_xor_b64 exec, exec, s[4:5]
	s_cbranch_execnz .LBB3_85
; %bb.86:
	s_mov_b64 exec, s[6:7]
	flat_load_dword v5, v[48:49] offset:8
	flat_load_dword v16, v[48:49] offset:32
	;; [unrolled: 1-line block ×3, first 2 shown]
	v_bfrev_b32_e32 v18, 1
	s_mov_b64 s[6:7], exec
	s_waitcnt vmcnt(0) lgkmcnt(0)
	v_sub_u32_e32 v4, v4, v5
	v_cmp_gt_i32_e32 vcc, v16, v15
	v_cmp_ge_i32_e64 s[4:5], v17, v46
	s_and_b64 s[4:5], s[4:5], vcc
	v_lshlrev_b32_e32 v4, 2, v4
	v_cndmask_b32_e64 v5, v18, 0, s[4:5]
	v_add_u32_e32 v5, v5, v4
.LBB3_87:                               ; =>This Inner Loop Header: Depth=1
	v_readfirstlane_b32 s8, v6
	v_readfirstlane_b32 s9, v7
	;; [unrolled: 1-line block ×4, first 2 shown]
	v_cmp_eq_u64_e32 vcc, s[8:9], v[6:7]
	v_cmp_eq_u64_e64 s[4:5], s[10:11], v[8:9]
	s_and_b64 s[4:5], vcc, s[4:5]
	s_and_saveexec_b64 s[4:5], s[4:5]
	s_nop 0
	buffer_store_dwordx4 v[10:13], v5, s[8:11], 0 offen
                                        ; implicit-def: $vgpr10_vgpr11_vgpr12_vgpr13
                                        ; implicit-def: $vgpr5
	s_xor_b64 exec, exec, s[4:5]
	s_cbranch_execnz .LBB3_87
; %bb.88:
	s_mov_b64 exec, s[6:7]
	flat_load_dword v5, v[48:49] offset:32
	flat_load_dword v10, v[48:49] offset:20
	;; [unrolled: 1-line block ×3, first 2 shown]
	v_bfrev_b32_e32 v12, 1
	s_mov_b64 s[6:7], exec
	s_waitcnt vmcnt(0) lgkmcnt(0)
	v_cmp_gt_i32_e32 vcc, v5, v14
	v_cmp_gt_i32_e64 s[4:5], v10, v39
	v_lshlrev_b32_e32 v5, 8, v11
	s_and_b64 s[4:5], s[4:5], vcc
	v_sub_u32_e32 v4, v4, v5
	v_cndmask_b32_e64 v5, v12, 0, s[4:5]
	v_add_u32_e32 v4, v4, v5
.LBB3_89:                               ; =>This Inner Loop Header: Depth=1
	v_readfirstlane_b32 s8, v6
	v_readfirstlane_b32 s9, v7
	;; [unrolled: 1-line block ×4, first 2 shown]
	v_cmp_eq_u64_e32 vcc, s[8:9], v[6:7]
	v_cmp_eq_u64_e64 s[4:5], s[10:11], v[8:9]
	s_and_b64 s[4:5], vcc, s[4:5]
	s_and_saveexec_b64 s[4:5], s[4:5]
	s_nop 0
	buffer_store_dwordx4 v[0:3], v4, s[8:11], 0 offen
                                        ; implicit-def: $vgpr6_vgpr7_vgpr8_vgpr9
                                        ; implicit-def: $vgpr0_vgpr1_vgpr2_vgpr3
                                        ; implicit-def: $vgpr4
	s_xor_b64 exec, exec, s[4:5]
	s_cbranch_execnz .LBB3_89
; %bb.90:
	s_mov_b64 exec, s[6:7]
	s_waitcnt vmcnt(0)
	s_setpc_b64 s[30:31]
.Lfunc_end3:
	.size	_ZN2ck32GridwiseGemmDlMultipleD_km_kn_mnILi256EffNS_5TupleIJfEEEfNS_16tensor_operation12element_wise11PassThroughES5_NS4_7AddReluELNS_25InMemoryDataOperationEnumE0ENS_16TensorDescriptorINS1_IJNS_5EmbedINS1_IJiiiEEESA_Lb0EEENS_11PassThroughIiEENS_3PadIiiiLb0EEESD_SD_NS9_INS1_IJiiEEESG_Lb0EEESD_NS_23Merge_v2_magic_divisionISG_EESJ_NS_8RightPadIiiLb0EEESL_NS_7UnMergeISG_Lb0EEESD_EEENS1_IJNS_8SequenceIJLi0EEEENSP_IJLi1EEEENSP_IJLi2EEEENSP_IJLi3EEEENSP_IJLi4EEEENSP_IJLi5EEEENSP_IJLi6EEEENSP_IJLi7ELi9EEEENSP_IJLi8ELi10EEEENSP_IJLi11EEEENSP_IJLi12EEEENSP_IJLi14EEEENSP_IJLi13EEEEEEENS1_IJNSP_IJLi1ELi2ELi3EEEESU_SV_SW_NSP_IJLi7EEEENSP_IJLi8ELi9EEEENSP_IJLi10EEEESZ_S10_S12_S11_NSP_IJLi15ELi16EEEENSP_IJLi17EEEEEEENSP_IJLi15ELi17ELi16EEEElEENS8_INS1_IJSN_SL_SL_SN_SD_EEENS1_IJSQ_SR_SS_SU_ST_EEENS1_IJNSP_IJLi1ELi2EEEEST_SU_NSP_IJLi5ELi6EEEES15_EEENSP_IJLi5ELi7ELi6EEEElEENS8_INS1_IJSH_SL_SL_EEENS1_IJSQ_SR_SS_EEENS1_IJS1F_ST_SU_EEENSP_IJLi3ELi4EEEElEELi128ELi128ELi16ELi1ELi4ELi4ELi1ENSP_IJLi8ELi2EEEES1P_NSP_IJLi8ELi1ELi1ELi1EEEENSP_IJLi2ELi1ELi128ELi1EEEENSP_IJLi1ELi2ELi0ELi3EEEES1S_NSP_IJLi4ELi1ELi1ELi1EEEES1S_NSP_IJLi1ELi1ELi1ELi1EEEES1Q_S1R_S1S_S1S_S1T_S1S_S1U_NSP_IJLi0ELi1ELi2ELi3ELi4ELi5EEEELi5ELi4EE3RunINS1_IJNS8_INS1_IJSH_SL_SL_NSM_INS1_IJiNS_17integral_constantIiLi2EEENS1Y_IiLi64EEEEEELb0EEES22_EEENS1_IJSQ_SR_SS_ST_SU_EEENS1_IJS1F_ST_SU_NSP_IJLi5ELi6ELi7EEEENSP_IJLi8ELi9ELi10EEEEEEENSP_IJLi5ELi6ELi7ELi8ELi9ELi10EEEElEEEEELb1ELb0ENS_31BlockToCTileMap_M00_N00_M01_N01ILi128ELi128ES1O_Lb0EEEEEvPKfS2E_NS1_IJS2E_EEEPfPvRKS5_S2J_RKS6_RKNS8_INS1_IJSB_SD_SF_SD_SD_SH_SD_SJ_SJ_SL_SL_SN_SD_SD_NSM_INS1_IJiNS1Y_IiLi128EEEEEELb0EEENSC_INS1Y_IiLi1EEEEEEEENS1_IJSQ_SR_SS_ST_SU_SV_SW_SX_SY_SZ_S10_S11_S12_NSP_IJLi15EEEES19_NSP_IJLi16EEEEEEENS1_IJS14_SU_SV_SW_S15_S16_S17_SZ_S10_S12_S11_S18_S19_NSP_IJLi18EEEENSP_IJLi19ELi20EEEENSP_IJLi21EEEEEEENSP_IJLi18ELi19ELi20ELi21EEEElEERKNS8_INS1_IJSN_SL_SL_SN_SD_SD_S2O_S2Q_EEENS1_IJSQ_SR_SS_SU_ST_SV_S15_SW_EEENS1_IJS1F_ST_SU_S1G_S15_NSP_IJLi8EEEENSP_IJLi9ELi10EEEESZ_EEENSP_IJLi8ELi9ELi10ELi11EEEElEERKT_RKS29_RKT2_NS1Y_IbXT0_EEENS1Y_IbXT1_EEE, .Lfunc_end3-_ZN2ck32GridwiseGemmDlMultipleD_km_kn_mnILi256EffNS_5TupleIJfEEEfNS_16tensor_operation12element_wise11PassThroughES5_NS4_7AddReluELNS_25InMemoryDataOperationEnumE0ENS_16TensorDescriptorINS1_IJNS_5EmbedINS1_IJiiiEEESA_Lb0EEENS_11PassThroughIiEENS_3PadIiiiLb0EEESD_SD_NS9_INS1_IJiiEEESG_Lb0EEESD_NS_23Merge_v2_magic_divisionISG_EESJ_NS_8RightPadIiiLb0EEESL_NS_7UnMergeISG_Lb0EEESD_EEENS1_IJNS_8SequenceIJLi0EEEENSP_IJLi1EEEENSP_IJLi2EEEENSP_IJLi3EEEENSP_IJLi4EEEENSP_IJLi5EEEENSP_IJLi6EEEENSP_IJLi7ELi9EEEENSP_IJLi8ELi10EEEENSP_IJLi11EEEENSP_IJLi12EEEENSP_IJLi14EEEENSP_IJLi13EEEEEEENS1_IJNSP_IJLi1ELi2ELi3EEEESU_SV_SW_NSP_IJLi7EEEENSP_IJLi8ELi9EEEENSP_IJLi10EEEESZ_S10_S12_S11_NSP_IJLi15ELi16EEEENSP_IJLi17EEEEEEENSP_IJLi15ELi17ELi16EEEElEENS8_INS1_IJSN_SL_SL_SN_SD_EEENS1_IJSQ_SR_SS_SU_ST_EEENS1_IJNSP_IJLi1ELi2EEEEST_SU_NSP_IJLi5ELi6EEEES15_EEENSP_IJLi5ELi7ELi6EEEElEENS8_INS1_IJSH_SL_SL_EEENS1_IJSQ_SR_SS_EEENS1_IJS1F_ST_SU_EEENSP_IJLi3ELi4EEEElEELi128ELi128ELi16ELi1ELi4ELi4ELi1ENSP_IJLi8ELi2EEEES1P_NSP_IJLi8ELi1ELi1ELi1EEEENSP_IJLi2ELi1ELi128ELi1EEEENSP_IJLi1ELi2ELi0ELi3EEEES1S_NSP_IJLi4ELi1ELi1ELi1EEEES1S_NSP_IJLi1ELi1ELi1ELi1EEEES1Q_S1R_S1S_S1S_S1T_S1S_S1U_NSP_IJLi0ELi1ELi2ELi3ELi4ELi5EEEELi5ELi4EE3RunINS1_IJNS8_INS1_IJSH_SL_SL_NSM_INS1_IJiNS_17integral_constantIiLi2EEENS1Y_IiLi64EEEEEELb0EEES22_EEENS1_IJSQ_SR_SS_ST_SU_EEENS1_IJS1F_ST_SU_NSP_IJLi5ELi6ELi7EEEENSP_IJLi8ELi9ELi10EEEEEEENSP_IJLi5ELi6ELi7ELi8ELi9ELi10EEEElEEEEELb1ELb0ENS_31BlockToCTileMap_M00_N00_M01_N01ILi128ELi128ES1O_Lb0EEEEEvPKfS2E_NS1_IJS2E_EEEPfPvRKS5_S2J_RKS6_RKNS8_INS1_IJSB_SD_SF_SD_SD_SH_SD_SJ_SJ_SL_SL_SN_SD_SD_NSM_INS1_IJiNS1Y_IiLi128EEEEEELb0EEENSC_INS1Y_IiLi1EEEEEEEENS1_IJSQ_SR_SS_ST_SU_SV_SW_SX_SY_SZ_S10_S11_S12_NSP_IJLi15EEEES19_NSP_IJLi16EEEEEEENS1_IJS14_SU_SV_SW_S15_S16_S17_SZ_S10_S12_S11_S18_S19_NSP_IJLi18EEEENSP_IJLi19ELi20EEEENSP_IJLi21EEEEEEENSP_IJLi18ELi19ELi20ELi21EEEElEERKNS8_INS1_IJSN_SL_SL_SN_SD_SD_S2O_S2Q_EEENS1_IJSQ_SR_SS_SU_ST_SV_S15_SW_EEENS1_IJS1F_ST_SU_S1G_S15_NSP_IJLi8EEEENSP_IJLi9ELi10EEEESZ_EEENSP_IJLi8ELi9ELi10ELi11EEEElEERKT_RKS29_RKT2_NS1Y_IbXT0_EEENS1Y_IbXT1_EEE
                                        ; -- End function
	.section	.AMDGPU.csdata,"",@progbits
; Function info:
; codeLenInByte = 35036
; NumSgprs: 36
; NumVgprs: 128
; NumAgprs: 12
; TotalNumVgprs: 140
; ScratchSize: 0
; MemoryBound: 0
	.section	.text._ZN2ck16tensor_operation6device12_GLOBAL__N_137kernel_grouped_conv_fwd_dl_multiple_dINS_32GridwiseGemmDlMultipleD_km_kn_mnILi256EffNS_5TupleIJfEEEfNS0_12element_wise11PassThroughES8_NS7_7AddReluELNS_25InMemoryDataOperationEnumE0ENS_16TensorDescriptorINS5_IJNS_5EmbedINS5_IJiiiEEESD_Lb0EEENS_11PassThroughIiEENS_3PadIiiiLb0EEESG_SG_NSC_INS5_IJiiEEESJ_Lb0EEESG_NS_23Merge_v2_magic_divisionISJ_EESM_NS_8RightPadIiiLb0EEESO_NS_7UnMergeISJ_Lb0EEESG_EEENS5_IJNS_8SequenceIJLi0EEEENSS_IJLi1EEEENSS_IJLi2EEEENSS_IJLi3EEEENSS_IJLi4EEEENSS_IJLi5EEEENSS_IJLi6EEEENSS_IJLi7ELi9EEEENSS_IJLi8ELi10EEEENSS_IJLi11EEEENSS_IJLi12EEEENSS_IJLi14EEEENSS_IJLi13EEEEEEENS5_IJNSS_IJLi1ELi2ELi3EEEESX_SY_SZ_NSS_IJLi7EEEENSS_IJLi8ELi9EEEENSS_IJLi10EEEES12_S13_S15_S14_NSS_IJLi15ELi16EEEENSS_IJLi17EEEEEEENSS_IJLi15ELi17ELi16EEEElEENSB_INS5_IJSQ_SO_SO_SQ_SG_EEENS5_IJST_SU_SV_SX_SW_EEENS5_IJNSS_IJLi1ELi2EEEESW_SX_NSS_IJLi5ELi6EEEES18_EEENSS_IJLi5ELi7ELi6EEEElEENSB_INS5_IJSK_SO_SO_EEENS5_IJST_SU_SV_EEENS5_IJS1I_SW_SX_EEENSS_IJLi3ELi4EEEElEELi128ELi128ELi16ELi1ELi4ELi4ELi1ENSS_IJLi8ELi2EEEES1S_NSS_IJLi8ELi1ELi1ELi1EEEENSS_IJLi2ELi1ELi128ELi1EEEENSS_IJLi1ELi2ELi0ELi3EEEES1V_NSS_IJLi4ELi1ELi1ELi1EEEES1V_NSS_IJLi1ELi1ELi1ELi1EEEES1T_S1U_S1V_S1V_S1W_S1V_S1X_NSS_IJLi0ELi1ELi2ELi3ELi4ELi5EEEELi5ELi4EEEfNS5_IJPKfEEEfS8_S8_S9_NSB_INS5_IJSE_SG_SI_SG_SG_SK_SG_SM_SM_SO_SO_SQ_SG_SG_NSP_INS5_IJiNS_17integral_constantIiLi128EEEEEELb0EEENSF_INS23_IiLi1EEEEEEEENS5_IJST_SU_SV_SW_SX_SY_SZ_S10_S11_S12_S13_S14_S15_NSS_IJLi15EEEES1C_NSS_IJLi16EEEEEEENS5_IJS17_SX_SY_SZ_S18_S19_S1A_S12_S13_S15_S14_S1B_S1C_NSS_IJLi18EEEENSS_IJLi19ELi20EEEENSS_IJLi21EEEEEEENSS_IJLi18ELi19ELi20ELi21EEEElEENSB_INS5_IJSQ_SO_SO_SQ_SG_SG_S26_S28_EEENS5_IJST_SU_SV_SX_SW_SY_S18_SZ_EEENS5_IJS1I_SW_SX_S1J_S18_NSS_IJLi8EEEENSS_IJLi9ELi10EEEES12_EEENSS_IJLi8ELi9ELi10ELi11EEEElEENS5_IJNSB_INS5_IJSK_SO_SO_NSP_INS5_IJiNS23_IiLi2EEENS23_IiLi64EEEEEELb0EEES2T_EEENS5_IJST_SU_SV_SW_SX_EEENS5_IJS1I_SW_SX_NSS_IJLi5ELi6ELi7EEEENSS_IJLi8ELi9ELi10EEEEEEENSS_IJLi5ELi6ELi7ELi8ELi9ELi10EEEElEEEEES30_NS_31BlockToCTileMap_M00_N00_M01_N01ILi128ELi128ES1R_Lb0EEENS1_30ComputePtrOffsetOfStridedBatchILi1ELi1ELi1EvEELb1ELb0EEEvPKT0_S38_T1_PT2_T3_T4_T5_iT6_T7_T8_T9_T10_T11_,"axG",@progbits,_ZN2ck16tensor_operation6device12_GLOBAL__N_137kernel_grouped_conv_fwd_dl_multiple_dINS_32GridwiseGemmDlMultipleD_km_kn_mnILi256EffNS_5TupleIJfEEEfNS0_12element_wise11PassThroughES8_NS7_7AddReluELNS_25InMemoryDataOperationEnumE0ENS_16TensorDescriptorINS5_IJNS_5EmbedINS5_IJiiiEEESD_Lb0EEENS_11PassThroughIiEENS_3PadIiiiLb0EEESG_SG_NSC_INS5_IJiiEEESJ_Lb0EEESG_NS_23Merge_v2_magic_divisionISJ_EESM_NS_8RightPadIiiLb0EEESO_NS_7UnMergeISJ_Lb0EEESG_EEENS5_IJNS_8SequenceIJLi0EEEENSS_IJLi1EEEENSS_IJLi2EEEENSS_IJLi3EEEENSS_IJLi4EEEENSS_IJLi5EEEENSS_IJLi6EEEENSS_IJLi7ELi9EEEENSS_IJLi8ELi10EEEENSS_IJLi11EEEENSS_IJLi12EEEENSS_IJLi14EEEENSS_IJLi13EEEEEEENS5_IJNSS_IJLi1ELi2ELi3EEEESX_SY_SZ_NSS_IJLi7EEEENSS_IJLi8ELi9EEEENSS_IJLi10EEEES12_S13_S15_S14_NSS_IJLi15ELi16EEEENSS_IJLi17EEEEEEENSS_IJLi15ELi17ELi16EEEElEENSB_INS5_IJSQ_SO_SO_SQ_SG_EEENS5_IJST_SU_SV_SX_SW_EEENS5_IJNSS_IJLi1ELi2EEEESW_SX_NSS_IJLi5ELi6EEEES18_EEENSS_IJLi5ELi7ELi6EEEElEENSB_INS5_IJSK_SO_SO_EEENS5_IJST_SU_SV_EEENS5_IJS1I_SW_SX_EEENSS_IJLi3ELi4EEEElEELi128ELi128ELi16ELi1ELi4ELi4ELi1ENSS_IJLi8ELi2EEEES1S_NSS_IJLi8ELi1ELi1ELi1EEEENSS_IJLi2ELi1ELi128ELi1EEEENSS_IJLi1ELi2ELi0ELi3EEEES1V_NSS_IJLi4ELi1ELi1ELi1EEEES1V_NSS_IJLi1ELi1ELi1ELi1EEEES1T_S1U_S1V_S1V_S1W_S1V_S1X_NSS_IJLi0ELi1ELi2ELi3ELi4ELi5EEEELi5ELi4EEEfNS5_IJPKfEEEfS8_S8_S9_NSB_INS5_IJSE_SG_SI_SG_SG_SK_SG_SM_SM_SO_SO_SQ_SG_SG_NSP_INS5_IJiNS_17integral_constantIiLi128EEEEEELb0EEENSF_INS23_IiLi1EEEEEEEENS5_IJST_SU_SV_SW_SX_SY_SZ_S10_S11_S12_S13_S14_S15_NSS_IJLi15EEEES1C_NSS_IJLi16EEEEEEENS5_IJS17_SX_SY_SZ_S18_S19_S1A_S12_S13_S15_S14_S1B_S1C_NSS_IJLi18EEEENSS_IJLi19ELi20EEEENSS_IJLi21EEEEEEENSS_IJLi18ELi19ELi20ELi21EEEElEENSB_INS5_IJSQ_SO_SO_SQ_SG_SG_S26_S28_EEENS5_IJST_SU_SV_SX_SW_SY_S18_SZ_EEENS5_IJS1I_SW_SX_S1J_S18_NSS_IJLi8EEEENSS_IJLi9ELi10EEEES12_EEENSS_IJLi8ELi9ELi10ELi11EEEElEENS5_IJNSB_INS5_IJSK_SO_SO_NSP_INS5_IJiNS23_IiLi2EEENS23_IiLi64EEEEEELb0EEES2T_EEENS5_IJST_SU_SV_SW_SX_EEENS5_IJS1I_SW_SX_NSS_IJLi5ELi6ELi7EEEENSS_IJLi8ELi9ELi10EEEEEEENSS_IJLi5ELi6ELi7ELi8ELi9ELi10EEEElEEEEES30_NS_31BlockToCTileMap_M00_N00_M01_N01ILi128ELi128ES1R_Lb0EEENS1_30ComputePtrOffsetOfStridedBatchILi1ELi1ELi1EvEELb1ELb0EEEvPKT0_S38_T1_PT2_T3_T4_T5_iT6_T7_T8_T9_T10_T11_,comdat
	.globl	_ZN2ck16tensor_operation6device12_GLOBAL__N_137kernel_grouped_conv_fwd_dl_multiple_dINS_32GridwiseGemmDlMultipleD_km_kn_mnILi256EffNS_5TupleIJfEEEfNS0_12element_wise11PassThroughES8_NS7_7AddReluELNS_25InMemoryDataOperationEnumE0ENS_16TensorDescriptorINS5_IJNS_5EmbedINS5_IJiiiEEESD_Lb0EEENS_11PassThroughIiEENS_3PadIiiiLb0EEESG_SG_NSC_INS5_IJiiEEESJ_Lb0EEESG_NS_23Merge_v2_magic_divisionISJ_EESM_NS_8RightPadIiiLb0EEESO_NS_7UnMergeISJ_Lb0EEESG_EEENS5_IJNS_8SequenceIJLi0EEEENSS_IJLi1EEEENSS_IJLi2EEEENSS_IJLi3EEEENSS_IJLi4EEEENSS_IJLi5EEEENSS_IJLi6EEEENSS_IJLi7ELi9EEEENSS_IJLi8ELi10EEEENSS_IJLi11EEEENSS_IJLi12EEEENSS_IJLi14EEEENSS_IJLi13EEEEEEENS5_IJNSS_IJLi1ELi2ELi3EEEESX_SY_SZ_NSS_IJLi7EEEENSS_IJLi8ELi9EEEENSS_IJLi10EEEES12_S13_S15_S14_NSS_IJLi15ELi16EEEENSS_IJLi17EEEEEEENSS_IJLi15ELi17ELi16EEEElEENSB_INS5_IJSQ_SO_SO_SQ_SG_EEENS5_IJST_SU_SV_SX_SW_EEENS5_IJNSS_IJLi1ELi2EEEESW_SX_NSS_IJLi5ELi6EEEES18_EEENSS_IJLi5ELi7ELi6EEEElEENSB_INS5_IJSK_SO_SO_EEENS5_IJST_SU_SV_EEENS5_IJS1I_SW_SX_EEENSS_IJLi3ELi4EEEElEELi128ELi128ELi16ELi1ELi4ELi4ELi1ENSS_IJLi8ELi2EEEES1S_NSS_IJLi8ELi1ELi1ELi1EEEENSS_IJLi2ELi1ELi128ELi1EEEENSS_IJLi1ELi2ELi0ELi3EEEES1V_NSS_IJLi4ELi1ELi1ELi1EEEES1V_NSS_IJLi1ELi1ELi1ELi1EEEES1T_S1U_S1V_S1V_S1W_S1V_S1X_NSS_IJLi0ELi1ELi2ELi3ELi4ELi5EEEELi5ELi4EEEfNS5_IJPKfEEEfS8_S8_S9_NSB_INS5_IJSE_SG_SI_SG_SG_SK_SG_SM_SM_SO_SO_SQ_SG_SG_NSP_INS5_IJiNS_17integral_constantIiLi128EEEEEELb0EEENSF_INS23_IiLi1EEEEEEEENS5_IJST_SU_SV_SW_SX_SY_SZ_S10_S11_S12_S13_S14_S15_NSS_IJLi15EEEES1C_NSS_IJLi16EEEEEEENS5_IJS17_SX_SY_SZ_S18_S19_S1A_S12_S13_S15_S14_S1B_S1C_NSS_IJLi18EEEENSS_IJLi19ELi20EEEENSS_IJLi21EEEEEEENSS_IJLi18ELi19ELi20ELi21EEEElEENSB_INS5_IJSQ_SO_SO_SQ_SG_SG_S26_S28_EEENS5_IJST_SU_SV_SX_SW_SY_S18_SZ_EEENS5_IJS1I_SW_SX_S1J_S18_NSS_IJLi8EEEENSS_IJLi9ELi10EEEES12_EEENSS_IJLi8ELi9ELi10ELi11EEEElEENS5_IJNSB_INS5_IJSK_SO_SO_NSP_INS5_IJiNS23_IiLi2EEENS23_IiLi64EEEEEELb0EEES2T_EEENS5_IJST_SU_SV_SW_SX_EEENS5_IJS1I_SW_SX_NSS_IJLi5ELi6ELi7EEEENSS_IJLi8ELi9ELi10EEEEEEENSS_IJLi5ELi6ELi7ELi8ELi9ELi10EEEElEEEEES30_NS_31BlockToCTileMap_M00_N00_M01_N01ILi128ELi128ES1R_Lb0EEENS1_30ComputePtrOffsetOfStridedBatchILi1ELi1ELi1EvEELb1ELb0EEEvPKT0_S38_T1_PT2_T3_T4_T5_iT6_T7_T8_T9_T10_T11_ ; -- Begin function _ZN2ck16tensor_operation6device12_GLOBAL__N_137kernel_grouped_conv_fwd_dl_multiple_dINS_32GridwiseGemmDlMultipleD_km_kn_mnILi256EffNS_5TupleIJfEEEfNS0_12element_wise11PassThroughES8_NS7_7AddReluELNS_25InMemoryDataOperationEnumE0ENS_16TensorDescriptorINS5_IJNS_5EmbedINS5_IJiiiEEESD_Lb0EEENS_11PassThroughIiEENS_3PadIiiiLb0EEESG_SG_NSC_INS5_IJiiEEESJ_Lb0EEESG_NS_23Merge_v2_magic_divisionISJ_EESM_NS_8RightPadIiiLb0EEESO_NS_7UnMergeISJ_Lb0EEESG_EEENS5_IJNS_8SequenceIJLi0EEEENSS_IJLi1EEEENSS_IJLi2EEEENSS_IJLi3EEEENSS_IJLi4EEEENSS_IJLi5EEEENSS_IJLi6EEEENSS_IJLi7ELi9EEEENSS_IJLi8ELi10EEEENSS_IJLi11EEEENSS_IJLi12EEEENSS_IJLi14EEEENSS_IJLi13EEEEEEENS5_IJNSS_IJLi1ELi2ELi3EEEESX_SY_SZ_NSS_IJLi7EEEENSS_IJLi8ELi9EEEENSS_IJLi10EEEES12_S13_S15_S14_NSS_IJLi15ELi16EEEENSS_IJLi17EEEEEEENSS_IJLi15ELi17ELi16EEEElEENSB_INS5_IJSQ_SO_SO_SQ_SG_EEENS5_IJST_SU_SV_SX_SW_EEENS5_IJNSS_IJLi1ELi2EEEESW_SX_NSS_IJLi5ELi6EEEES18_EEENSS_IJLi5ELi7ELi6EEEElEENSB_INS5_IJSK_SO_SO_EEENS5_IJST_SU_SV_EEENS5_IJS1I_SW_SX_EEENSS_IJLi3ELi4EEEElEELi128ELi128ELi16ELi1ELi4ELi4ELi1ENSS_IJLi8ELi2EEEES1S_NSS_IJLi8ELi1ELi1ELi1EEEENSS_IJLi2ELi1ELi128ELi1EEEENSS_IJLi1ELi2ELi0ELi3EEEES1V_NSS_IJLi4ELi1ELi1ELi1EEEES1V_NSS_IJLi1ELi1ELi1ELi1EEEES1T_S1U_S1V_S1V_S1W_S1V_S1X_NSS_IJLi0ELi1ELi2ELi3ELi4ELi5EEEELi5ELi4EEEfNS5_IJPKfEEEfS8_S8_S9_NSB_INS5_IJSE_SG_SI_SG_SG_SK_SG_SM_SM_SO_SO_SQ_SG_SG_NSP_INS5_IJiNS_17integral_constantIiLi128EEEEEELb0EEENSF_INS23_IiLi1EEEEEEEENS5_IJST_SU_SV_SW_SX_SY_SZ_S10_S11_S12_S13_S14_S15_NSS_IJLi15EEEES1C_NSS_IJLi16EEEEEEENS5_IJS17_SX_SY_SZ_S18_S19_S1A_S12_S13_S15_S14_S1B_S1C_NSS_IJLi18EEEENSS_IJLi19ELi20EEEENSS_IJLi21EEEEEEENSS_IJLi18ELi19ELi20ELi21EEEElEENSB_INS5_IJSQ_SO_SO_SQ_SG_SG_S26_S28_EEENS5_IJST_SU_SV_SX_SW_SY_S18_SZ_EEENS5_IJS1I_SW_SX_S1J_S18_NSS_IJLi8EEEENSS_IJLi9ELi10EEEES12_EEENSS_IJLi8ELi9ELi10ELi11EEEElEENS5_IJNSB_INS5_IJSK_SO_SO_NSP_INS5_IJiNS23_IiLi2EEENS23_IiLi64EEEEEELb0EEES2T_EEENS5_IJST_SU_SV_SW_SX_EEENS5_IJS1I_SW_SX_NSS_IJLi5ELi6ELi7EEEENSS_IJLi8ELi9ELi10EEEEEEENSS_IJLi5ELi6ELi7ELi8ELi9ELi10EEEElEEEEES30_NS_31BlockToCTileMap_M00_N00_M01_N01ILi128ELi128ES1R_Lb0EEENS1_30ComputePtrOffsetOfStridedBatchILi1ELi1ELi1EvEELb1ELb0EEEvPKT0_S38_T1_PT2_T3_T4_T5_iT6_T7_T8_T9_T10_T11_
	.p2align	8
	.type	_ZN2ck16tensor_operation6device12_GLOBAL__N_137kernel_grouped_conv_fwd_dl_multiple_dINS_32GridwiseGemmDlMultipleD_km_kn_mnILi256EffNS_5TupleIJfEEEfNS0_12element_wise11PassThroughES8_NS7_7AddReluELNS_25InMemoryDataOperationEnumE0ENS_16TensorDescriptorINS5_IJNS_5EmbedINS5_IJiiiEEESD_Lb0EEENS_11PassThroughIiEENS_3PadIiiiLb0EEESG_SG_NSC_INS5_IJiiEEESJ_Lb0EEESG_NS_23Merge_v2_magic_divisionISJ_EESM_NS_8RightPadIiiLb0EEESO_NS_7UnMergeISJ_Lb0EEESG_EEENS5_IJNS_8SequenceIJLi0EEEENSS_IJLi1EEEENSS_IJLi2EEEENSS_IJLi3EEEENSS_IJLi4EEEENSS_IJLi5EEEENSS_IJLi6EEEENSS_IJLi7ELi9EEEENSS_IJLi8ELi10EEEENSS_IJLi11EEEENSS_IJLi12EEEENSS_IJLi14EEEENSS_IJLi13EEEEEEENS5_IJNSS_IJLi1ELi2ELi3EEEESX_SY_SZ_NSS_IJLi7EEEENSS_IJLi8ELi9EEEENSS_IJLi10EEEES12_S13_S15_S14_NSS_IJLi15ELi16EEEENSS_IJLi17EEEEEEENSS_IJLi15ELi17ELi16EEEElEENSB_INS5_IJSQ_SO_SO_SQ_SG_EEENS5_IJST_SU_SV_SX_SW_EEENS5_IJNSS_IJLi1ELi2EEEESW_SX_NSS_IJLi5ELi6EEEES18_EEENSS_IJLi5ELi7ELi6EEEElEENSB_INS5_IJSK_SO_SO_EEENS5_IJST_SU_SV_EEENS5_IJS1I_SW_SX_EEENSS_IJLi3ELi4EEEElEELi128ELi128ELi16ELi1ELi4ELi4ELi1ENSS_IJLi8ELi2EEEES1S_NSS_IJLi8ELi1ELi1ELi1EEEENSS_IJLi2ELi1ELi128ELi1EEEENSS_IJLi1ELi2ELi0ELi3EEEES1V_NSS_IJLi4ELi1ELi1ELi1EEEES1V_NSS_IJLi1ELi1ELi1ELi1EEEES1T_S1U_S1V_S1V_S1W_S1V_S1X_NSS_IJLi0ELi1ELi2ELi3ELi4ELi5EEEELi5ELi4EEEfNS5_IJPKfEEEfS8_S8_S9_NSB_INS5_IJSE_SG_SI_SG_SG_SK_SG_SM_SM_SO_SO_SQ_SG_SG_NSP_INS5_IJiNS_17integral_constantIiLi128EEEEEELb0EEENSF_INS23_IiLi1EEEEEEEENS5_IJST_SU_SV_SW_SX_SY_SZ_S10_S11_S12_S13_S14_S15_NSS_IJLi15EEEES1C_NSS_IJLi16EEEEEEENS5_IJS17_SX_SY_SZ_S18_S19_S1A_S12_S13_S15_S14_S1B_S1C_NSS_IJLi18EEEENSS_IJLi19ELi20EEEENSS_IJLi21EEEEEEENSS_IJLi18ELi19ELi20ELi21EEEElEENSB_INS5_IJSQ_SO_SO_SQ_SG_SG_S26_S28_EEENS5_IJST_SU_SV_SX_SW_SY_S18_SZ_EEENS5_IJS1I_SW_SX_S1J_S18_NSS_IJLi8EEEENSS_IJLi9ELi10EEEES12_EEENSS_IJLi8ELi9ELi10ELi11EEEElEENS5_IJNSB_INS5_IJSK_SO_SO_NSP_INS5_IJiNS23_IiLi2EEENS23_IiLi64EEEEEELb0EEES2T_EEENS5_IJST_SU_SV_SW_SX_EEENS5_IJS1I_SW_SX_NSS_IJLi5ELi6ELi7EEEENSS_IJLi8ELi9ELi10EEEEEEENSS_IJLi5ELi6ELi7ELi8ELi9ELi10EEEElEEEEES30_NS_31BlockToCTileMap_M00_N00_M01_N01ILi128ELi128ES1R_Lb0EEENS1_30ComputePtrOffsetOfStridedBatchILi1ELi1ELi1EvEELb1ELb0EEEvPKT0_S38_T1_PT2_T3_T4_T5_iT6_T7_T8_T9_T10_T11_,@function
_ZN2ck16tensor_operation6device12_GLOBAL__N_137kernel_grouped_conv_fwd_dl_multiple_dINS_32GridwiseGemmDlMultipleD_km_kn_mnILi256EffNS_5TupleIJfEEEfNS0_12element_wise11PassThroughES8_NS7_7AddReluELNS_25InMemoryDataOperationEnumE0ENS_16TensorDescriptorINS5_IJNS_5EmbedINS5_IJiiiEEESD_Lb0EEENS_11PassThroughIiEENS_3PadIiiiLb0EEESG_SG_NSC_INS5_IJiiEEESJ_Lb0EEESG_NS_23Merge_v2_magic_divisionISJ_EESM_NS_8RightPadIiiLb0EEESO_NS_7UnMergeISJ_Lb0EEESG_EEENS5_IJNS_8SequenceIJLi0EEEENSS_IJLi1EEEENSS_IJLi2EEEENSS_IJLi3EEEENSS_IJLi4EEEENSS_IJLi5EEEENSS_IJLi6EEEENSS_IJLi7ELi9EEEENSS_IJLi8ELi10EEEENSS_IJLi11EEEENSS_IJLi12EEEENSS_IJLi14EEEENSS_IJLi13EEEEEEENS5_IJNSS_IJLi1ELi2ELi3EEEESX_SY_SZ_NSS_IJLi7EEEENSS_IJLi8ELi9EEEENSS_IJLi10EEEES12_S13_S15_S14_NSS_IJLi15ELi16EEEENSS_IJLi17EEEEEEENSS_IJLi15ELi17ELi16EEEElEENSB_INS5_IJSQ_SO_SO_SQ_SG_EEENS5_IJST_SU_SV_SX_SW_EEENS5_IJNSS_IJLi1ELi2EEEESW_SX_NSS_IJLi5ELi6EEEES18_EEENSS_IJLi5ELi7ELi6EEEElEENSB_INS5_IJSK_SO_SO_EEENS5_IJST_SU_SV_EEENS5_IJS1I_SW_SX_EEENSS_IJLi3ELi4EEEElEELi128ELi128ELi16ELi1ELi4ELi4ELi1ENSS_IJLi8ELi2EEEES1S_NSS_IJLi8ELi1ELi1ELi1EEEENSS_IJLi2ELi1ELi128ELi1EEEENSS_IJLi1ELi2ELi0ELi3EEEES1V_NSS_IJLi4ELi1ELi1ELi1EEEES1V_NSS_IJLi1ELi1ELi1ELi1EEEES1T_S1U_S1V_S1V_S1W_S1V_S1X_NSS_IJLi0ELi1ELi2ELi3ELi4ELi5EEEELi5ELi4EEEfNS5_IJPKfEEEfS8_S8_S9_NSB_INS5_IJSE_SG_SI_SG_SG_SK_SG_SM_SM_SO_SO_SQ_SG_SG_NSP_INS5_IJiNS_17integral_constantIiLi128EEEEEELb0EEENSF_INS23_IiLi1EEEEEEEENS5_IJST_SU_SV_SW_SX_SY_SZ_S10_S11_S12_S13_S14_S15_NSS_IJLi15EEEES1C_NSS_IJLi16EEEEEEENS5_IJS17_SX_SY_SZ_S18_S19_S1A_S12_S13_S15_S14_S1B_S1C_NSS_IJLi18EEEENSS_IJLi19ELi20EEEENSS_IJLi21EEEEEEENSS_IJLi18ELi19ELi20ELi21EEEElEENSB_INS5_IJSQ_SO_SO_SQ_SG_SG_S26_S28_EEENS5_IJST_SU_SV_SX_SW_SY_S18_SZ_EEENS5_IJS1I_SW_SX_S1J_S18_NSS_IJLi8EEEENSS_IJLi9ELi10EEEES12_EEENSS_IJLi8ELi9ELi10ELi11EEEElEENS5_IJNSB_INS5_IJSK_SO_SO_NSP_INS5_IJiNS23_IiLi2EEENS23_IiLi64EEEEEELb0EEES2T_EEENS5_IJST_SU_SV_SW_SX_EEENS5_IJS1I_SW_SX_NSS_IJLi5ELi6ELi7EEEENSS_IJLi8ELi9ELi10EEEEEEENSS_IJLi5ELi6ELi7ELi8ELi9ELi10EEEElEEEEES30_NS_31BlockToCTileMap_M00_N00_M01_N01ILi128ELi128ES1R_Lb0EEENS1_30ComputePtrOffsetOfStridedBatchILi1ELi1ELi1EvEELb1ELb0EEEvPKT0_S38_T1_PT2_T3_T4_T5_iT6_T7_T8_T9_T10_T11_: ; @_ZN2ck16tensor_operation6device12_GLOBAL__N_137kernel_grouped_conv_fwd_dl_multiple_dINS_32GridwiseGemmDlMultipleD_km_kn_mnILi256EffNS_5TupleIJfEEEfNS0_12element_wise11PassThroughES8_NS7_7AddReluELNS_25InMemoryDataOperationEnumE0ENS_16TensorDescriptorINS5_IJNS_5EmbedINS5_IJiiiEEESD_Lb0EEENS_11PassThroughIiEENS_3PadIiiiLb0EEESG_SG_NSC_INS5_IJiiEEESJ_Lb0EEESG_NS_23Merge_v2_magic_divisionISJ_EESM_NS_8RightPadIiiLb0EEESO_NS_7UnMergeISJ_Lb0EEESG_EEENS5_IJNS_8SequenceIJLi0EEEENSS_IJLi1EEEENSS_IJLi2EEEENSS_IJLi3EEEENSS_IJLi4EEEENSS_IJLi5EEEENSS_IJLi6EEEENSS_IJLi7ELi9EEEENSS_IJLi8ELi10EEEENSS_IJLi11EEEENSS_IJLi12EEEENSS_IJLi14EEEENSS_IJLi13EEEEEEENS5_IJNSS_IJLi1ELi2ELi3EEEESX_SY_SZ_NSS_IJLi7EEEENSS_IJLi8ELi9EEEENSS_IJLi10EEEES12_S13_S15_S14_NSS_IJLi15ELi16EEEENSS_IJLi17EEEEEEENSS_IJLi15ELi17ELi16EEEElEENSB_INS5_IJSQ_SO_SO_SQ_SG_EEENS5_IJST_SU_SV_SX_SW_EEENS5_IJNSS_IJLi1ELi2EEEESW_SX_NSS_IJLi5ELi6EEEES18_EEENSS_IJLi5ELi7ELi6EEEElEENSB_INS5_IJSK_SO_SO_EEENS5_IJST_SU_SV_EEENS5_IJS1I_SW_SX_EEENSS_IJLi3ELi4EEEElEELi128ELi128ELi16ELi1ELi4ELi4ELi1ENSS_IJLi8ELi2EEEES1S_NSS_IJLi8ELi1ELi1ELi1EEEENSS_IJLi2ELi1ELi128ELi1EEEENSS_IJLi1ELi2ELi0ELi3EEEES1V_NSS_IJLi4ELi1ELi1ELi1EEEES1V_NSS_IJLi1ELi1ELi1ELi1EEEES1T_S1U_S1V_S1V_S1W_S1V_S1X_NSS_IJLi0ELi1ELi2ELi3ELi4ELi5EEEELi5ELi4EEEfNS5_IJPKfEEEfS8_S8_S9_NSB_INS5_IJSE_SG_SI_SG_SG_SK_SG_SM_SM_SO_SO_SQ_SG_SG_NSP_INS5_IJiNS_17integral_constantIiLi128EEEEEELb0EEENSF_INS23_IiLi1EEEEEEEENS5_IJST_SU_SV_SW_SX_SY_SZ_S10_S11_S12_S13_S14_S15_NSS_IJLi15EEEES1C_NSS_IJLi16EEEEEEENS5_IJS17_SX_SY_SZ_S18_S19_S1A_S12_S13_S15_S14_S1B_S1C_NSS_IJLi18EEEENSS_IJLi19ELi20EEEENSS_IJLi21EEEEEEENSS_IJLi18ELi19ELi20ELi21EEEElEENSB_INS5_IJSQ_SO_SO_SQ_SG_SG_S26_S28_EEENS5_IJST_SU_SV_SX_SW_SY_S18_SZ_EEENS5_IJS1I_SW_SX_S1J_S18_NSS_IJLi8EEEENSS_IJLi9ELi10EEEES12_EEENSS_IJLi8ELi9ELi10ELi11EEEElEENS5_IJNSB_INS5_IJSK_SO_SO_NSP_INS5_IJiNS23_IiLi2EEENS23_IiLi64EEEEEELb0EEES2T_EEENS5_IJST_SU_SV_SW_SX_EEENS5_IJS1I_SW_SX_NSS_IJLi5ELi6ELi7EEEENSS_IJLi8ELi9ELi10EEEEEEENSS_IJLi5ELi6ELi7ELi8ELi9ELi10EEEElEEEEES30_NS_31BlockToCTileMap_M00_N00_M01_N01ILi128ELi128ES1R_Lb0EEENS1_30ComputePtrOffsetOfStridedBatchILi1ELi1ELi1EvEELb1ELb0EEEvPKT0_S38_T1_PT2_T3_T4_T5_iT6_T7_T8_T9_T10_T11_
; %bb.0:
	s_add_u32 flat_scratch_lo, s6, s9
	s_mov_b32 s12, s8
	s_load_dwordx2 s[10:11], s[4:5], 0xe8
	s_load_dwordx8 s[16:23], s[4:5], 0x0
	s_load_dword s8, s[4:5], 0x24
	s_load_dwordx8 s[24:31], s[4:5], 0x28
	s_addc_u32 flat_scratch_hi, s7, 0
	s_add_u32 s0, s0, s9
	s_addc_u32 s1, s1, 0
	s_waitcnt lgkmcnt(0)
	v_mov_b32_e32 v1, s11
	buffer_store_dword v1, off, s[0:3], 0 offset:196
	v_mov_b32_e32 v1, s10
	buffer_store_dword v1, off, s[0:3], 0 offset:192
	v_mov_b32_e32 v1, s24
	buffer_store_dword v1, off, s[0:3], 0
	v_mov_b32_e32 v1, s25
	buffer_store_dword v1, off, s[0:3], 0 offset:4
	v_mov_b32_e32 v1, s26
	buffer_store_dword v1, off, s[0:3], 0 offset:8
	v_mov_b32_e32 v1, s27
	s_load_dwordx8 s[36:43], s[4:5], 0x48
	buffer_store_dword v1, off, s[0:3], 0 offset:12
	v_mov_b32_e32 v1, s28
	buffer_store_dword v1, off, s[0:3], 0 offset:16
	v_mov_b32_e32 v1, s29
	buffer_store_dword v1, off, s[0:3], 0 offset:20
	v_mov_b32_e32 v1, s30
	buffer_store_dword v1, off, s[0:3], 0 offset:24
	v_mov_b32_e32 v1, s31
	buffer_store_dword v1, off, s[0:3], 0 offset:28
	s_waitcnt lgkmcnt(0)
	v_mov_b32_e32 v1, s36
	buffer_store_dword v1, off, s[0:3], 0 offset:32
	v_mov_b32_e32 v1, s37
	buffer_store_dword v1, off, s[0:3], 0 offset:36
	v_mov_b32_e32 v1, s38
	buffer_store_dword v1, off, s[0:3], 0 offset:40
	v_mov_b32_e32 v1, s39
	s_load_dwordx8 s[24:31], s[4:5], 0x68
	buffer_store_dword v1, off, s[0:3], 0 offset:44
	v_mov_b32_e32 v1, s40
	buffer_store_dword v1, off, s[0:3], 0 offset:48
	v_mov_b32_e32 v1, s41
	buffer_store_dword v1, off, s[0:3], 0 offset:52
	v_mov_b32_e32 v1, s42
	buffer_store_dword v1, off, s[0:3], 0 offset:56
	v_mov_b32_e32 v1, s43
	buffer_store_dword v1, off, s[0:3], 0 offset:60
	s_waitcnt lgkmcnt(0)
	v_mov_b32_e32 v1, s24
	buffer_store_dword v1, off, s[0:3], 0 offset:64
	;; [unrolled: 18-line block ×6, first 2 shown]
	v_mov_b32_e32 v1, s26
	buffer_store_dword v1, off, s[0:3], 0 offset:208
	v_mov_b32_e32 v1, s25
	s_load_dwordx8 s[36:43], s[4:5], 0x110
	buffer_store_dword v1, off, s[0:3], 0 offset:204
	v_mov_b32_e32 v1, s24
	buffer_store_dword v1, off, s[0:3], 0 offset:200
	v_mov_b32_e32 v1, s31
	;; [unrolled: 2-line block ×5, first 2 shown]
	buffer_store_dword v1, off, s[0:3], 0 offset:216
	s_waitcnt lgkmcnt(0)
	v_mov_b32_e32 v1, s39
	buffer_store_dword v1, off, s[0:3], 0 offset:244
	v_mov_b32_e32 v1, s38
	buffer_store_dword v1, off, s[0:3], 0 offset:240
	v_mov_b32_e32 v1, s37
	buffer_store_dword v1, off, s[0:3], 0 offset:236
	v_mov_b32_e32 v1, s36
	s_load_dwordx8 s[44:51], s[4:5], 0x130
	buffer_store_dword v1, off, s[0:3], 0 offset:232
	v_mov_b32_e32 v1, s43
	buffer_store_dword v1, off, s[0:3], 0 offset:260
	v_mov_b32_e32 v1, s42
	;; [unrolled: 2-line block ×4, first 2 shown]
	buffer_store_dword v1, off, s[0:3], 0 offset:248
	s_waitcnt lgkmcnt(0)
	v_mov_b32_e32 v1, s47
	buffer_store_dword v1, off, s[0:3], 0 offset:276
	v_mov_b32_e32 v1, s46
	buffer_store_dword v1, off, s[0:3], 0 offset:272
	;; [unrolled: 2-line block ×5, first 2 shown]
	v_mov_b32_e32 v1, s50
	s_load_dwordx8 s[24:31], s[4:5], 0x190
	buffer_store_dword v1, off, s[0:3], 0 offset:288
	v_mov_b32_e32 v1, s49
	buffer_store_dword v1, off, s[0:3], 0 offset:284
	v_mov_b32_e32 v1, s48
	buffer_store_dword v1, off, s[0:3], 0 offset:280
	s_load_dwordx8 s[36:43], s[4:5], 0x150
	s_load_dwordx8 s[44:51], s[4:5], 0x170
	s_waitcnt lgkmcnt(0)
	v_mov_b32_e32 v1, s27
	buffer_store_dword v1, off, s[0:3], 0 offset:372
	v_mov_b32_e32 v1, s26
	buffer_store_dword v1, off, s[0:3], 0 offset:368
	;; [unrolled: 2-line block ×15, first 2 shown]
	v_mov_b32_e32 v1, s40
	s_load_dwordx8 s[40:47], s[4:5], 0x1d0
	buffer_store_dword v1, off, s[0:3], 0 offset:312
	v_mov_b32_e32 v1, s39
	buffer_store_dword v1, off, s[0:3], 0 offset:308
	v_mov_b32_e32 v1, s38
	buffer_store_dword v1, off, s[0:3], 0 offset:304
	v_mov_b32_e32 v1, s37
	buffer_store_dword v1, off, s[0:3], 0 offset:300
	v_mov_b32_e32 v1, s36
	buffer_store_dword v1, off, s[0:3], 0 offset:296
	s_waitcnt lgkmcnt(0)
	v_mov_b32_e32 v1, s47
	buffer_store_dword v1, off, s[0:3], 0 offset:452
	v_mov_b32_e32 v1, s46
	buffer_store_dword v1, off, s[0:3], 0 offset:448
	v_mov_b32_e32 v1, s45
	s_load_dwordx8 s[48:55], s[4:5], 0x1b0
	buffer_store_dword v1, off, s[0:3], 0 offset:444
	v_mov_b32_e32 v1, s44
	buffer_store_dword v1, off, s[0:3], 0 offset:440
	v_mov_b32_e32 v1, s43
	;; [unrolled: 2-line block ×5, first 2 shown]
	buffer_store_dword v1, off, s[0:3], 0 offset:424
	s_waitcnt lgkmcnt(0)
	v_mov_b32_e32 v1, s55
	buffer_store_dword v1, off, s[0:3], 0 offset:420
	v_mov_b32_e32 v1, s54
	buffer_store_dword v1, off, s[0:3], 0 offset:416
	;; [unrolled: 2-line block ×6, first 2 shown]
	v_mov_b32_e32 v1, s49
	s_mov_b64 s[6:7], src_private_base
	buffer_store_dword v1, off, s[0:3], 0 offset:396
	v_mov_b32_e32 v1, s48
	buffer_store_dword v1, off, s[0:3], 0 offset:392
	v_mov_b32_e32 v1, s31
	s_abs_i32 s6, s8
	buffer_store_dword v1, off, s[0:3], 0 offset:388
	v_mov_b32_e32 v1, s30
	s_load_dwordx4 s[52:55], s[4:5], 0x250
	v_cvt_f32_u32_e32 v2, s6
	buffer_store_dword v1, off, s[0:3], 0 offset:384
	v_mov_b32_e32 v1, s29
	buffer_store_dword v1, off, s[0:3], 0 offset:380
	v_mov_b32_e32 v1, s28
	buffer_store_dword v1, off, s[0:3], 0 offset:376
	s_load_dwordx8 s[24:31], s[4:5], 0x1f0
	s_load_dwordx8 s[36:43], s[4:5], 0x210
	;; [unrolled: 1-line block ×3, first 2 shown]
	s_load_dword s9, s[4:5], 0x288
	v_rcp_iflag_f32_e32 v2, v2
	s_waitcnt lgkmcnt(0)
	v_mov_b32_e32 v1, s55
	buffer_store_dword v1, off, s[0:3], 0 offset:564
	v_mov_b32_e32 v1, s54
	buffer_store_dword v1, off, s[0:3], 0 offset:560
	;; [unrolled: 2-line block ×3, first 2 shown]
	v_mov_b32_e32 v1, s52
	v_mul_f32_e32 v2, 0x4f7ffffe, v2
	buffer_store_dword v1, off, s[0:3], 0 offset:552
	v_mov_b32_e32 v1, s51
	v_cvt_u32_f32_e32 v2, v2
	buffer_store_dword v1, off, s[0:3], 0 offset:548
	v_mov_b32_e32 v1, s50
	buffer_store_dword v1, off, s[0:3], 0 offset:544
	v_mov_b32_e32 v1, s49
	;; [unrolled: 2-line block ×4, first 2 shown]
	s_sub_i32 s10, 0, s6
	v_readfirstlane_b32 s11, v2
	buffer_store_dword v1, off, s[0:3], 0 offset:532
	v_mov_b32_e32 v1, s46
	s_mul_i32 s10, s10, s11
	buffer_store_dword v1, off, s[0:3], 0 offset:528
	v_mov_b32_e32 v1, s45
	s_mul_hi_u32 s10, s11, s10
	buffer_store_dword v1, off, s[0:3], 0 offset:524
	v_mov_b32_e32 v1, s44
	s_xor_b32 s8, s9, s8
	s_abs_i32 s9, s9
	s_add_i32 s11, s11, s10
	buffer_store_dword v1, off, s[0:3], 0 offset:520
	v_mov_b32_e32 v1, s43
	s_mul_hi_u32 s10, s9, s11
	buffer_store_dword v1, off, s[0:3], 0 offset:516
	v_mov_b32_e32 v1, s42
	s_mul_i32 s11, s10, s6
	buffer_store_dword v1, off, s[0:3], 0 offset:512
	v_mov_b32_e32 v1, s41
	s_sub_i32 s9, s9, s11
	buffer_store_dword v1, off, s[0:3], 0 offset:508
	v_mov_b32_e32 v1, s40
	s_ashr_i32 s8, s8, 31
	s_add_i32 s11, s10, 1
	s_sub_i32 s13, s9, s6
	buffer_store_dword v1, off, s[0:3], 0 offset:504
	v_mov_b32_e32 v1, s39
	s_cmp_ge_u32 s9, s6
	buffer_store_dword v1, off, s[0:3], 0 offset:500
	v_mov_b32_e32 v1, s38
	s_cselect_b32 s10, s11, s10
	buffer_store_dword v1, off, s[0:3], 0 offset:496
	v_mov_b32_e32 v1, s37
	s_cselect_b32 s9, s13, s9
	s_add_i32 s11, s10, 1
	buffer_store_dword v1, off, s[0:3], 0 offset:492
	v_mov_b32_e32 v1, s36
	s_cmp_ge_u32 s9, s6
	buffer_store_dword v1, off, s[0:3], 0 offset:488
	v_mov_b32_e32 v1, s31
	s_cselect_b32 s6, s11, s10
	buffer_store_dword v1, off, s[0:3], 0 offset:484
	v_mov_b32_e32 v1, s30
	s_xor_b32 s6, s6, s8
	buffer_store_dword v1, off, s[0:3], 0 offset:480
	v_mov_b32_e32 v1, s29
	s_sub_i32 s6, s6, s8
	buffer_store_dword v1, off, s[0:3], 0 offset:476
	v_mov_b32_e32 v1, s28
	s_abs_i32 s8, s6
	buffer_store_dword v1, off, s[0:3], 0 offset:472
	v_mov_b32_e32 v1, s27
	v_cvt_f32_u32_e32 v2, s8
	buffer_store_dword v1, off, s[0:3], 0 offset:468
	v_mov_b32_e32 v1, s26
	buffer_store_dword v1, off, s[0:3], 0 offset:464
	v_mov_b32_e32 v1, s25
	;; [unrolled: 2-line block ×3, first 2 shown]
	buffer_store_dword v1, off, s[0:3], 0 offset:456
	v_rcp_iflag_f32_e32 v1, v2
	s_sub_i32 s11, 0, s8
	s_abs_i32 s10, s12
	s_xor_b32 s6, s12, s6
	v_mul_f32_e32 v1, 0x4f7ffffe, v1
	v_cvt_u32_f32_e32 v1, v1
	s_ashr_i32 s6, s6, 31
	s_load_dwordx8 s[24:31], s[4:5], 0x260
	s_mov_b32 s9, 0
	v_readfirstlane_b32 s13, v1
	s_mul_i32 s11, s11, s13
	s_mul_hi_u32 s11, s13, s11
	s_add_i32 s13, s13, s11
	s_mul_hi_u32 s11, s10, s13
	s_mul_i32 s13, s11, s8
	s_sub_i32 s10, s10, s13
	s_add_i32 s13, s11, 1
	s_sub_i32 s14, s10, s8
	s_cmp_ge_u32 s10, s8
	s_cselect_b32 s11, s13, s11
	s_cselect_b32 s10, s14, s10
	s_add_i32 s13, s11, 1
	s_cmp_ge_u32 s10, s8
	s_cselect_b32 s8, s13, s11
	s_xor_b32 s8, s8, s6
	s_sub_i32 s6, s8, s6
	s_ashr_i32 s13, s6, 31
	s_waitcnt lgkmcnt(0)
	s_mul_i32 s8, s24, s13
	s_mul_hi_u32 s10, s24, s6
	s_add_i32 s8, s10, s8
	s_mul_i32 s10, s25, s6
	s_add_i32 s33, s8, s10
	s_mul_i32 s8, s24, s6
	s_mul_i32 s10, s26, s13
	;; [unrolled: 1-line block ×4, first 2 shown]
	s_mul_hi_u32 s24, s28, s6
	s_mul_hi_u32 s11, s26, s6
	;; [unrolled: 1-line block ×3, first 2 shown]
	s_add_i32 s13, s24, s13
	s_mul_i32 s24, s29, s6
	s_add_i32 s10, s11, s10
	s_mul_i32 s11, s27, s6
	;; [unrolled: 2-line block ×5, first 2 shown]
	s_add_i32 s26, s14, s15
	s_lshl_b64 s[24:25], s[24:25], 2
	s_mul_i32 s14, s30, s6
	s_add_u32 s6, s20, s24
	s_addc_u32 s13, s21, s25
	s_lshl_b32 s21, s33, 2
	s_mov_b32 s20, s9
	s_lshl_b64 s[24:25], s[8:9], 2
	s_or_b64 s[20:21], s[20:21], s[24:25]
	s_mov_b32 s11, s9
	s_add_u32 s20, s16, s20
	s_addc_u32 s21, s17, s21
	s_lshl_b32 s17, s27, 2
	s_mov_b32 s16, s9
	s_lshl_b64 s[10:11], s[10:11], 2
	s_or_b64 s[10:11], s[16:17], s[10:11]
	s_mov_b32 s15, s9
	s_add_u32 s16, s18, s10
	s_addc_u32 s17, s19, s11
	s_lshl_b32 s11, s26, 2
	s_mov_b32 s10, s9
	s_lshl_b64 s[8:9], s[14:15], 2
	s_or_b64 s[8:9], s[10:11], s[8:9]
	s_add_u32 s10, s22, s8
	s_addc_u32 s11, s23, s9
	s_add_u32 s8, s4, 0x288
	s_addc_u32 s9, s5, 0
	v_mov_b32_e32 v31, v0
	v_mov_b32_e32 v0, s20
	v_mov_b32_e32 v1, s21
	v_mov_b32_e32 v2, s16
	v_mov_b32_e32 v3, s17
	v_mov_b32_e32 v4, s6
	v_mov_b32_e32 v5, s13
	v_mov_b32_e32 v6, s10
	v_mov_b32_e32 v7, s11
	v_mov_b32_e32 v8, 0
	v_mov_b32_e32 v9, s7
	v_mov_b32_e32 v10, 0xc8
	v_mov_b32_e32 v11, s7
	v_mov_b32_e32 v12, 0x128
	v_mov_b32_e32 v13, s7
	v_mov_b32_e32 v14, 0x178
	v_mov_b32_e32 v15, s7
	v_mov_b32_e32 v16, 0x1c8
	v_mov_b32_e32 v17, s7
	s_mov_b32 s32, 0x9000
	s_getpc_b64 s[4:5]
	s_add_u32 s4, s4, _ZN2ck32GridwiseGemmDlMultipleD_km_kn_mnILi256EffNS_5TupleIJfEEEfNS_16tensor_operation12element_wise11PassThroughES5_NS4_7AddReluELNS_25InMemoryDataOperationEnumE0ENS_16TensorDescriptorINS1_IJNS_5EmbedINS1_IJiiiEEESA_Lb0EEENS_11PassThroughIiEENS_3PadIiiiLb0EEESD_SD_NS9_INS1_IJiiEEESG_Lb0EEESD_NS_23Merge_v2_magic_divisionISG_EESJ_NS_8RightPadIiiLb0EEESL_NS_7UnMergeISG_Lb0EEESD_EEENS1_IJNS_8SequenceIJLi0EEEENSP_IJLi1EEEENSP_IJLi2EEEENSP_IJLi3EEEENSP_IJLi4EEEENSP_IJLi5EEEENSP_IJLi6EEEENSP_IJLi7ELi9EEEENSP_IJLi8ELi10EEEENSP_IJLi11EEEENSP_IJLi12EEEENSP_IJLi14EEEENSP_IJLi13EEEEEEENS1_IJNSP_IJLi1ELi2ELi3EEEESU_SV_SW_NSP_IJLi7EEEENSP_IJLi8ELi9EEEENSP_IJLi10EEEESZ_S10_S12_S11_NSP_IJLi15ELi16EEEENSP_IJLi17EEEEEEENSP_IJLi15ELi17ELi16EEEElEENS8_INS1_IJSN_SL_SL_SN_SD_EEENS1_IJSQ_SR_SS_SU_ST_EEENS1_IJNSP_IJLi1ELi2EEEEST_SU_NSP_IJLi5ELi6EEEES15_EEENSP_IJLi5ELi7ELi6EEEElEENS8_INS1_IJSH_SL_SL_EEENS1_IJSQ_SR_SS_EEENS1_IJS1F_ST_SU_EEENSP_IJLi3ELi4EEEElEELi128ELi128ELi16ELi1ELi4ELi4ELi1ENSP_IJLi8ELi2EEEES1P_NSP_IJLi8ELi1ELi1ELi1EEEENSP_IJLi2ELi1ELi128ELi1EEEENSP_IJLi1ELi2ELi0ELi3EEEES1S_NSP_IJLi4ELi1ELi1ELi1EEEES1S_NSP_IJLi1ELi1ELi1ELi1EEEES1Q_S1R_S1S_S1S_S1T_S1S_S1U_NSP_IJLi0ELi1ELi2ELi3ELi4ELi5EEEELi5ELi4EE3RunINS1_IJNS8_INS1_IJSH_SL_SL_NSM_INS1_IJiNS_17integral_constantIiLi2EEENS1Y_IiLi64EEEEEELb0EEES22_EEENS1_IJSQ_SR_SS_ST_SU_EEENS1_IJS1F_ST_SU_NSP_IJLi5ELi6ELi7EEEENSP_IJLi8ELi9ELi10EEEEEEENSP_IJLi5ELi6ELi7ELi8ELi9ELi10EEEElEEEEELb1ELb0ENS_31BlockToCTileMap_M00_N00_M01_N01ILi128ELi128ES1O_Lb0EEEEEvPKfS2E_NS1_IJS2E_EEEPfPvRKS5_S2J_RKS6_RKNS8_INS1_IJSB_SD_SF_SD_SD_SH_SD_SJ_SJ_SL_SL_SN_SD_SD_NSM_INS1_IJiNS1Y_IiLi128EEEEEELb0EEENSC_INS1Y_IiLi1EEEEEEEENS1_IJSQ_SR_SS_ST_SU_SV_SW_SX_SY_SZ_S10_S11_S12_NSP_IJLi15EEEES19_NSP_IJLi16EEEEEEENS1_IJS14_SU_SV_SW_S15_S16_S17_SZ_S10_S12_S11_S18_S19_NSP_IJLi18EEEENSP_IJLi19ELi20EEEENSP_IJLi21EEEEEEENSP_IJLi18ELi19ELi20ELi21EEEElEERKNS8_INS1_IJSN_SL_SL_SN_SD_SD_S2O_S2Q_EEENS1_IJSQ_SR_SS_SU_ST_SV_S15_SW_EEENS1_IJS1F_ST_SU_S1G_S15_NSP_IJLi8EEEENSP_IJLi9ELi10EEEESZ_EEENSP_IJLi8ELi9ELi10ELi11EEEElEERKT_RKS29_RKT2_NS1Y_IbXT0_EEENS1Y_IbXT1_EEE@rel32@lo+4
	s_addc_u32 s5, s5, _ZN2ck32GridwiseGemmDlMultipleD_km_kn_mnILi256EffNS_5TupleIJfEEEfNS_16tensor_operation12element_wise11PassThroughES5_NS4_7AddReluELNS_25InMemoryDataOperationEnumE0ENS_16TensorDescriptorINS1_IJNS_5EmbedINS1_IJiiiEEESA_Lb0EEENS_11PassThroughIiEENS_3PadIiiiLb0EEESD_SD_NS9_INS1_IJiiEEESG_Lb0EEESD_NS_23Merge_v2_magic_divisionISG_EESJ_NS_8RightPadIiiLb0EEESL_NS_7UnMergeISG_Lb0EEESD_EEENS1_IJNS_8SequenceIJLi0EEEENSP_IJLi1EEEENSP_IJLi2EEEENSP_IJLi3EEEENSP_IJLi4EEEENSP_IJLi5EEEENSP_IJLi6EEEENSP_IJLi7ELi9EEEENSP_IJLi8ELi10EEEENSP_IJLi11EEEENSP_IJLi12EEEENSP_IJLi14EEEENSP_IJLi13EEEEEEENS1_IJNSP_IJLi1ELi2ELi3EEEESU_SV_SW_NSP_IJLi7EEEENSP_IJLi8ELi9EEEENSP_IJLi10EEEESZ_S10_S12_S11_NSP_IJLi15ELi16EEEENSP_IJLi17EEEEEEENSP_IJLi15ELi17ELi16EEEElEENS8_INS1_IJSN_SL_SL_SN_SD_EEENS1_IJSQ_SR_SS_SU_ST_EEENS1_IJNSP_IJLi1ELi2EEEEST_SU_NSP_IJLi5ELi6EEEES15_EEENSP_IJLi5ELi7ELi6EEEElEENS8_INS1_IJSH_SL_SL_EEENS1_IJSQ_SR_SS_EEENS1_IJS1F_ST_SU_EEENSP_IJLi3ELi4EEEElEELi128ELi128ELi16ELi1ELi4ELi4ELi1ENSP_IJLi8ELi2EEEES1P_NSP_IJLi8ELi1ELi1ELi1EEEENSP_IJLi2ELi1ELi128ELi1EEEENSP_IJLi1ELi2ELi0ELi3EEEES1S_NSP_IJLi4ELi1ELi1ELi1EEEES1S_NSP_IJLi1ELi1ELi1ELi1EEEES1Q_S1R_S1S_S1S_S1T_S1S_S1U_NSP_IJLi0ELi1ELi2ELi3ELi4ELi5EEEELi5ELi4EE3RunINS1_IJNS8_INS1_IJSH_SL_SL_NSM_INS1_IJiNS_17integral_constantIiLi2EEENS1Y_IiLi64EEEEEELb0EEES22_EEENS1_IJSQ_SR_SS_ST_SU_EEENS1_IJS1F_ST_SU_NSP_IJLi5ELi6ELi7EEEENSP_IJLi8ELi9ELi10EEEEEEENSP_IJLi5ELi6ELi7ELi8ELi9ELi10EEEElEEEEELb1ELb0ENS_31BlockToCTileMap_M00_N00_M01_N01ILi128ELi128ES1O_Lb0EEEEEvPKfS2E_NS1_IJS2E_EEEPfPvRKS5_S2J_RKS6_RKNS8_INS1_IJSB_SD_SF_SD_SD_SH_SD_SJ_SJ_SL_SL_SN_SD_SD_NSM_INS1_IJiNS1Y_IiLi128EEEEEELb0EEENSC_INS1Y_IiLi1EEEEEEEENS1_IJSQ_SR_SS_ST_SU_SV_SW_SX_SY_SZ_S10_S11_S12_NSP_IJLi15EEEES19_NSP_IJLi16EEEEEEENS1_IJS14_SU_SV_SW_S15_S16_S17_SZ_S10_S12_S11_S18_S19_NSP_IJLi18EEEENSP_IJLi19ELi20EEEENSP_IJLi21EEEEEEENSP_IJLi18ELi19ELi20ELi21EEEElEERKNS8_INS1_IJSN_SL_SL_SN_SD_SD_S2O_S2Q_EEENS1_IJSQ_SR_SS_SU_ST_SV_S15_SW_EEENS1_IJS1F_ST_SU_S1G_S15_NSP_IJLi8EEEENSP_IJLi9ELi10EEEESZ_EEENSP_IJLi8ELi9ELi10ELi11EEEElEERKT_RKS29_RKT2_NS1Y_IbXT0_EEENS1Y_IbXT1_EEE@rel32@hi+12
	s_swappc_b64 s[30:31], s[4:5]
	s_endpgm
	.section	.rodata,"a",@progbits
	.p2align	6, 0x0
	.amdhsa_kernel _ZN2ck16tensor_operation6device12_GLOBAL__N_137kernel_grouped_conv_fwd_dl_multiple_dINS_32GridwiseGemmDlMultipleD_km_kn_mnILi256EffNS_5TupleIJfEEEfNS0_12element_wise11PassThroughES8_NS7_7AddReluELNS_25InMemoryDataOperationEnumE0ENS_16TensorDescriptorINS5_IJNS_5EmbedINS5_IJiiiEEESD_Lb0EEENS_11PassThroughIiEENS_3PadIiiiLb0EEESG_SG_NSC_INS5_IJiiEEESJ_Lb0EEESG_NS_23Merge_v2_magic_divisionISJ_EESM_NS_8RightPadIiiLb0EEESO_NS_7UnMergeISJ_Lb0EEESG_EEENS5_IJNS_8SequenceIJLi0EEEENSS_IJLi1EEEENSS_IJLi2EEEENSS_IJLi3EEEENSS_IJLi4EEEENSS_IJLi5EEEENSS_IJLi6EEEENSS_IJLi7ELi9EEEENSS_IJLi8ELi10EEEENSS_IJLi11EEEENSS_IJLi12EEEENSS_IJLi14EEEENSS_IJLi13EEEEEEENS5_IJNSS_IJLi1ELi2ELi3EEEESX_SY_SZ_NSS_IJLi7EEEENSS_IJLi8ELi9EEEENSS_IJLi10EEEES12_S13_S15_S14_NSS_IJLi15ELi16EEEENSS_IJLi17EEEEEEENSS_IJLi15ELi17ELi16EEEElEENSB_INS5_IJSQ_SO_SO_SQ_SG_EEENS5_IJST_SU_SV_SX_SW_EEENS5_IJNSS_IJLi1ELi2EEEESW_SX_NSS_IJLi5ELi6EEEES18_EEENSS_IJLi5ELi7ELi6EEEElEENSB_INS5_IJSK_SO_SO_EEENS5_IJST_SU_SV_EEENS5_IJS1I_SW_SX_EEENSS_IJLi3ELi4EEEElEELi128ELi128ELi16ELi1ELi4ELi4ELi1ENSS_IJLi8ELi2EEEES1S_NSS_IJLi8ELi1ELi1ELi1EEEENSS_IJLi2ELi1ELi128ELi1EEEENSS_IJLi1ELi2ELi0ELi3EEEES1V_NSS_IJLi4ELi1ELi1ELi1EEEES1V_NSS_IJLi1ELi1ELi1ELi1EEEES1T_S1U_S1V_S1V_S1W_S1V_S1X_NSS_IJLi0ELi1ELi2ELi3ELi4ELi5EEEELi5ELi4EEEfNS5_IJPKfEEEfS8_S8_S9_NSB_INS5_IJSE_SG_SI_SG_SG_SK_SG_SM_SM_SO_SO_SQ_SG_SG_NSP_INS5_IJiNS_17integral_constantIiLi128EEEEEELb0EEENSF_INS23_IiLi1EEEEEEEENS5_IJST_SU_SV_SW_SX_SY_SZ_S10_S11_S12_S13_S14_S15_NSS_IJLi15EEEES1C_NSS_IJLi16EEEEEEENS5_IJS17_SX_SY_SZ_S18_S19_S1A_S12_S13_S15_S14_S1B_S1C_NSS_IJLi18EEEENSS_IJLi19ELi20EEEENSS_IJLi21EEEEEEENSS_IJLi18ELi19ELi20ELi21EEEElEENSB_INS5_IJSQ_SO_SO_SQ_SG_SG_S26_S28_EEENS5_IJST_SU_SV_SX_SW_SY_S18_SZ_EEENS5_IJS1I_SW_SX_S1J_S18_NSS_IJLi8EEEENSS_IJLi9ELi10EEEES12_EEENSS_IJLi8ELi9ELi10ELi11EEEElEENS5_IJNSB_INS5_IJSK_SO_SO_NSP_INS5_IJiNS23_IiLi2EEENS23_IiLi64EEEEEELb0EEES2T_EEENS5_IJST_SU_SV_SW_SX_EEENS5_IJS1I_SW_SX_NSS_IJLi5ELi6ELi7EEEENSS_IJLi8ELi9ELi10EEEEEEENSS_IJLi5ELi6ELi7ELi8ELi9ELi10EEEElEEEEES30_NS_31BlockToCTileMap_M00_N00_M01_N01ILi128ELi128ES1R_Lb0EEENS1_30ComputePtrOffsetOfStridedBatchILi1ELi1ELi1EvEELb1ELb0EEEvPKT0_S38_T1_PT2_T3_T4_T5_iT6_T7_T8_T9_T10_T11_
		.amdhsa_group_segment_fixed_size 32768
		.amdhsa_private_segment_fixed_size 576
		.amdhsa_kernarg_size 904
		.amdhsa_user_sgpr_count 8
		.amdhsa_user_sgpr_private_segment_buffer 1
		.amdhsa_user_sgpr_dispatch_ptr 0
		.amdhsa_user_sgpr_queue_ptr 0
		.amdhsa_user_sgpr_kernarg_segment_ptr 1
		.amdhsa_user_sgpr_dispatch_id 0
		.amdhsa_user_sgpr_flat_scratch_init 1
		.amdhsa_user_sgpr_kernarg_preload_length 0
		.amdhsa_user_sgpr_kernarg_preload_offset 0
		.amdhsa_user_sgpr_private_segment_size 0
		.amdhsa_uses_dynamic_stack 0
		.amdhsa_system_sgpr_private_segment_wavefront_offset 1
		.amdhsa_system_sgpr_workgroup_id_x 1
		.amdhsa_system_sgpr_workgroup_id_y 0
		.amdhsa_system_sgpr_workgroup_id_z 0
		.amdhsa_system_sgpr_workgroup_info 0
		.amdhsa_system_vgpr_workitem_id 0
		.amdhsa_next_free_vgpr 140
		.amdhsa_next_free_sgpr 56
		.amdhsa_accum_offset 128
		.amdhsa_reserve_vcc 1
		.amdhsa_reserve_flat_scratch 1
		.amdhsa_float_round_mode_32 0
		.amdhsa_float_round_mode_16_64 0
		.amdhsa_float_denorm_mode_32 3
		.amdhsa_float_denorm_mode_16_64 3
		.amdhsa_dx10_clamp 1
		.amdhsa_ieee_mode 1
		.amdhsa_fp16_overflow 0
		.amdhsa_tg_split 0
		.amdhsa_exception_fp_ieee_invalid_op 0
		.amdhsa_exception_fp_denorm_src 0
		.amdhsa_exception_fp_ieee_div_zero 0
		.amdhsa_exception_fp_ieee_overflow 0
		.amdhsa_exception_fp_ieee_underflow 0
		.amdhsa_exception_fp_ieee_inexact 0
		.amdhsa_exception_int_div_zero 0
	.end_amdhsa_kernel
	.section	.text._ZN2ck16tensor_operation6device12_GLOBAL__N_137kernel_grouped_conv_fwd_dl_multiple_dINS_32GridwiseGemmDlMultipleD_km_kn_mnILi256EffNS_5TupleIJfEEEfNS0_12element_wise11PassThroughES8_NS7_7AddReluELNS_25InMemoryDataOperationEnumE0ENS_16TensorDescriptorINS5_IJNS_5EmbedINS5_IJiiiEEESD_Lb0EEENS_11PassThroughIiEENS_3PadIiiiLb0EEESG_SG_NSC_INS5_IJiiEEESJ_Lb0EEESG_NS_23Merge_v2_magic_divisionISJ_EESM_NS_8RightPadIiiLb0EEESO_NS_7UnMergeISJ_Lb0EEESG_EEENS5_IJNS_8SequenceIJLi0EEEENSS_IJLi1EEEENSS_IJLi2EEEENSS_IJLi3EEEENSS_IJLi4EEEENSS_IJLi5EEEENSS_IJLi6EEEENSS_IJLi7ELi9EEEENSS_IJLi8ELi10EEEENSS_IJLi11EEEENSS_IJLi12EEEENSS_IJLi14EEEENSS_IJLi13EEEEEEENS5_IJNSS_IJLi1ELi2ELi3EEEESX_SY_SZ_NSS_IJLi7EEEENSS_IJLi8ELi9EEEENSS_IJLi10EEEES12_S13_S15_S14_NSS_IJLi15ELi16EEEENSS_IJLi17EEEEEEENSS_IJLi15ELi17ELi16EEEElEENSB_INS5_IJSQ_SO_SO_SQ_SG_EEENS5_IJST_SU_SV_SX_SW_EEENS5_IJNSS_IJLi1ELi2EEEESW_SX_NSS_IJLi5ELi6EEEES18_EEENSS_IJLi5ELi7ELi6EEEElEENSB_INS5_IJSK_SO_SO_EEENS5_IJST_SU_SV_EEENS5_IJS1I_SW_SX_EEENSS_IJLi3ELi4EEEElEELi128ELi128ELi16ELi1ELi4ELi4ELi1ENSS_IJLi8ELi2EEEES1S_NSS_IJLi8ELi1ELi1ELi1EEEENSS_IJLi2ELi1ELi128ELi1EEEENSS_IJLi1ELi2ELi0ELi3EEEES1V_NSS_IJLi4ELi1ELi1ELi1EEEES1V_NSS_IJLi1ELi1ELi1ELi1EEEES1T_S1U_S1V_S1V_S1W_S1V_S1X_NSS_IJLi0ELi1ELi2ELi3ELi4ELi5EEEELi5ELi4EEEfNS5_IJPKfEEEfS8_S8_S9_NSB_INS5_IJSE_SG_SI_SG_SG_SK_SG_SM_SM_SO_SO_SQ_SG_SG_NSP_INS5_IJiNS_17integral_constantIiLi128EEEEEELb0EEENSF_INS23_IiLi1EEEEEEEENS5_IJST_SU_SV_SW_SX_SY_SZ_S10_S11_S12_S13_S14_S15_NSS_IJLi15EEEES1C_NSS_IJLi16EEEEEEENS5_IJS17_SX_SY_SZ_S18_S19_S1A_S12_S13_S15_S14_S1B_S1C_NSS_IJLi18EEEENSS_IJLi19ELi20EEEENSS_IJLi21EEEEEEENSS_IJLi18ELi19ELi20ELi21EEEElEENSB_INS5_IJSQ_SO_SO_SQ_SG_SG_S26_S28_EEENS5_IJST_SU_SV_SX_SW_SY_S18_SZ_EEENS5_IJS1I_SW_SX_S1J_S18_NSS_IJLi8EEEENSS_IJLi9ELi10EEEES12_EEENSS_IJLi8ELi9ELi10ELi11EEEElEENS5_IJNSB_INS5_IJSK_SO_SO_NSP_INS5_IJiNS23_IiLi2EEENS23_IiLi64EEEEEELb0EEES2T_EEENS5_IJST_SU_SV_SW_SX_EEENS5_IJS1I_SW_SX_NSS_IJLi5ELi6ELi7EEEENSS_IJLi8ELi9ELi10EEEEEEENSS_IJLi5ELi6ELi7ELi8ELi9ELi10EEEElEEEEES30_NS_31BlockToCTileMap_M00_N00_M01_N01ILi128ELi128ES1R_Lb0EEENS1_30ComputePtrOffsetOfStridedBatchILi1ELi1ELi1EvEELb1ELb0EEEvPKT0_S38_T1_PT2_T3_T4_T5_iT6_T7_T8_T9_T10_T11_,"axG",@progbits,_ZN2ck16tensor_operation6device12_GLOBAL__N_137kernel_grouped_conv_fwd_dl_multiple_dINS_32GridwiseGemmDlMultipleD_km_kn_mnILi256EffNS_5TupleIJfEEEfNS0_12element_wise11PassThroughES8_NS7_7AddReluELNS_25InMemoryDataOperationEnumE0ENS_16TensorDescriptorINS5_IJNS_5EmbedINS5_IJiiiEEESD_Lb0EEENS_11PassThroughIiEENS_3PadIiiiLb0EEESG_SG_NSC_INS5_IJiiEEESJ_Lb0EEESG_NS_23Merge_v2_magic_divisionISJ_EESM_NS_8RightPadIiiLb0EEESO_NS_7UnMergeISJ_Lb0EEESG_EEENS5_IJNS_8SequenceIJLi0EEEENSS_IJLi1EEEENSS_IJLi2EEEENSS_IJLi3EEEENSS_IJLi4EEEENSS_IJLi5EEEENSS_IJLi6EEEENSS_IJLi7ELi9EEEENSS_IJLi8ELi10EEEENSS_IJLi11EEEENSS_IJLi12EEEENSS_IJLi14EEEENSS_IJLi13EEEEEEENS5_IJNSS_IJLi1ELi2ELi3EEEESX_SY_SZ_NSS_IJLi7EEEENSS_IJLi8ELi9EEEENSS_IJLi10EEEES12_S13_S15_S14_NSS_IJLi15ELi16EEEENSS_IJLi17EEEEEEENSS_IJLi15ELi17ELi16EEEElEENSB_INS5_IJSQ_SO_SO_SQ_SG_EEENS5_IJST_SU_SV_SX_SW_EEENS5_IJNSS_IJLi1ELi2EEEESW_SX_NSS_IJLi5ELi6EEEES18_EEENSS_IJLi5ELi7ELi6EEEElEENSB_INS5_IJSK_SO_SO_EEENS5_IJST_SU_SV_EEENS5_IJS1I_SW_SX_EEENSS_IJLi3ELi4EEEElEELi128ELi128ELi16ELi1ELi4ELi4ELi1ENSS_IJLi8ELi2EEEES1S_NSS_IJLi8ELi1ELi1ELi1EEEENSS_IJLi2ELi1ELi128ELi1EEEENSS_IJLi1ELi2ELi0ELi3EEEES1V_NSS_IJLi4ELi1ELi1ELi1EEEES1V_NSS_IJLi1ELi1ELi1ELi1EEEES1T_S1U_S1V_S1V_S1W_S1V_S1X_NSS_IJLi0ELi1ELi2ELi3ELi4ELi5EEEELi5ELi4EEEfNS5_IJPKfEEEfS8_S8_S9_NSB_INS5_IJSE_SG_SI_SG_SG_SK_SG_SM_SM_SO_SO_SQ_SG_SG_NSP_INS5_IJiNS_17integral_constantIiLi128EEEEEELb0EEENSF_INS23_IiLi1EEEEEEEENS5_IJST_SU_SV_SW_SX_SY_SZ_S10_S11_S12_S13_S14_S15_NSS_IJLi15EEEES1C_NSS_IJLi16EEEEEEENS5_IJS17_SX_SY_SZ_S18_S19_S1A_S12_S13_S15_S14_S1B_S1C_NSS_IJLi18EEEENSS_IJLi19ELi20EEEENSS_IJLi21EEEEEEENSS_IJLi18ELi19ELi20ELi21EEEElEENSB_INS5_IJSQ_SO_SO_SQ_SG_SG_S26_S28_EEENS5_IJST_SU_SV_SX_SW_SY_S18_SZ_EEENS5_IJS1I_SW_SX_S1J_S18_NSS_IJLi8EEEENSS_IJLi9ELi10EEEES12_EEENSS_IJLi8ELi9ELi10ELi11EEEElEENS5_IJNSB_INS5_IJSK_SO_SO_NSP_INS5_IJiNS23_IiLi2EEENS23_IiLi64EEEEEELb0EEES2T_EEENS5_IJST_SU_SV_SW_SX_EEENS5_IJS1I_SW_SX_NSS_IJLi5ELi6ELi7EEEENSS_IJLi8ELi9ELi10EEEEEEENSS_IJLi5ELi6ELi7ELi8ELi9ELi10EEEElEEEEES30_NS_31BlockToCTileMap_M00_N00_M01_N01ILi128ELi128ES1R_Lb0EEENS1_30ComputePtrOffsetOfStridedBatchILi1ELi1ELi1EvEELb1ELb0EEEvPKT0_S38_T1_PT2_T3_T4_T5_iT6_T7_T8_T9_T10_T11_,comdat
.Lfunc_end4:
	.size	_ZN2ck16tensor_operation6device12_GLOBAL__N_137kernel_grouped_conv_fwd_dl_multiple_dINS_32GridwiseGemmDlMultipleD_km_kn_mnILi256EffNS_5TupleIJfEEEfNS0_12element_wise11PassThroughES8_NS7_7AddReluELNS_25InMemoryDataOperationEnumE0ENS_16TensorDescriptorINS5_IJNS_5EmbedINS5_IJiiiEEESD_Lb0EEENS_11PassThroughIiEENS_3PadIiiiLb0EEESG_SG_NSC_INS5_IJiiEEESJ_Lb0EEESG_NS_23Merge_v2_magic_divisionISJ_EESM_NS_8RightPadIiiLb0EEESO_NS_7UnMergeISJ_Lb0EEESG_EEENS5_IJNS_8SequenceIJLi0EEEENSS_IJLi1EEEENSS_IJLi2EEEENSS_IJLi3EEEENSS_IJLi4EEEENSS_IJLi5EEEENSS_IJLi6EEEENSS_IJLi7ELi9EEEENSS_IJLi8ELi10EEEENSS_IJLi11EEEENSS_IJLi12EEEENSS_IJLi14EEEENSS_IJLi13EEEEEEENS5_IJNSS_IJLi1ELi2ELi3EEEESX_SY_SZ_NSS_IJLi7EEEENSS_IJLi8ELi9EEEENSS_IJLi10EEEES12_S13_S15_S14_NSS_IJLi15ELi16EEEENSS_IJLi17EEEEEEENSS_IJLi15ELi17ELi16EEEElEENSB_INS5_IJSQ_SO_SO_SQ_SG_EEENS5_IJST_SU_SV_SX_SW_EEENS5_IJNSS_IJLi1ELi2EEEESW_SX_NSS_IJLi5ELi6EEEES18_EEENSS_IJLi5ELi7ELi6EEEElEENSB_INS5_IJSK_SO_SO_EEENS5_IJST_SU_SV_EEENS5_IJS1I_SW_SX_EEENSS_IJLi3ELi4EEEElEELi128ELi128ELi16ELi1ELi4ELi4ELi1ENSS_IJLi8ELi2EEEES1S_NSS_IJLi8ELi1ELi1ELi1EEEENSS_IJLi2ELi1ELi128ELi1EEEENSS_IJLi1ELi2ELi0ELi3EEEES1V_NSS_IJLi4ELi1ELi1ELi1EEEES1V_NSS_IJLi1ELi1ELi1ELi1EEEES1T_S1U_S1V_S1V_S1W_S1V_S1X_NSS_IJLi0ELi1ELi2ELi3ELi4ELi5EEEELi5ELi4EEEfNS5_IJPKfEEEfS8_S8_S9_NSB_INS5_IJSE_SG_SI_SG_SG_SK_SG_SM_SM_SO_SO_SQ_SG_SG_NSP_INS5_IJiNS_17integral_constantIiLi128EEEEEELb0EEENSF_INS23_IiLi1EEEEEEEENS5_IJST_SU_SV_SW_SX_SY_SZ_S10_S11_S12_S13_S14_S15_NSS_IJLi15EEEES1C_NSS_IJLi16EEEEEEENS5_IJS17_SX_SY_SZ_S18_S19_S1A_S12_S13_S15_S14_S1B_S1C_NSS_IJLi18EEEENSS_IJLi19ELi20EEEENSS_IJLi21EEEEEEENSS_IJLi18ELi19ELi20ELi21EEEElEENSB_INS5_IJSQ_SO_SO_SQ_SG_SG_S26_S28_EEENS5_IJST_SU_SV_SX_SW_SY_S18_SZ_EEENS5_IJS1I_SW_SX_S1J_S18_NSS_IJLi8EEEENSS_IJLi9ELi10EEEES12_EEENSS_IJLi8ELi9ELi10ELi11EEEElEENS5_IJNSB_INS5_IJSK_SO_SO_NSP_INS5_IJiNS23_IiLi2EEENS23_IiLi64EEEEEELb0EEES2T_EEENS5_IJST_SU_SV_SW_SX_EEENS5_IJS1I_SW_SX_NSS_IJLi5ELi6ELi7EEEENSS_IJLi8ELi9ELi10EEEEEEENSS_IJLi5ELi6ELi7ELi8ELi9ELi10EEEElEEEEES30_NS_31BlockToCTileMap_M00_N00_M01_N01ILi128ELi128ES1R_Lb0EEENS1_30ComputePtrOffsetOfStridedBatchILi1ELi1ELi1EvEELb1ELb0EEEvPKT0_S38_T1_PT2_T3_T4_T5_iT6_T7_T8_T9_T10_T11_, .Lfunc_end4-_ZN2ck16tensor_operation6device12_GLOBAL__N_137kernel_grouped_conv_fwd_dl_multiple_dINS_32GridwiseGemmDlMultipleD_km_kn_mnILi256EffNS_5TupleIJfEEEfNS0_12element_wise11PassThroughES8_NS7_7AddReluELNS_25InMemoryDataOperationEnumE0ENS_16TensorDescriptorINS5_IJNS_5EmbedINS5_IJiiiEEESD_Lb0EEENS_11PassThroughIiEENS_3PadIiiiLb0EEESG_SG_NSC_INS5_IJiiEEESJ_Lb0EEESG_NS_23Merge_v2_magic_divisionISJ_EESM_NS_8RightPadIiiLb0EEESO_NS_7UnMergeISJ_Lb0EEESG_EEENS5_IJNS_8SequenceIJLi0EEEENSS_IJLi1EEEENSS_IJLi2EEEENSS_IJLi3EEEENSS_IJLi4EEEENSS_IJLi5EEEENSS_IJLi6EEEENSS_IJLi7ELi9EEEENSS_IJLi8ELi10EEEENSS_IJLi11EEEENSS_IJLi12EEEENSS_IJLi14EEEENSS_IJLi13EEEEEEENS5_IJNSS_IJLi1ELi2ELi3EEEESX_SY_SZ_NSS_IJLi7EEEENSS_IJLi8ELi9EEEENSS_IJLi10EEEES12_S13_S15_S14_NSS_IJLi15ELi16EEEENSS_IJLi17EEEEEEENSS_IJLi15ELi17ELi16EEEElEENSB_INS5_IJSQ_SO_SO_SQ_SG_EEENS5_IJST_SU_SV_SX_SW_EEENS5_IJNSS_IJLi1ELi2EEEESW_SX_NSS_IJLi5ELi6EEEES18_EEENSS_IJLi5ELi7ELi6EEEElEENSB_INS5_IJSK_SO_SO_EEENS5_IJST_SU_SV_EEENS5_IJS1I_SW_SX_EEENSS_IJLi3ELi4EEEElEELi128ELi128ELi16ELi1ELi4ELi4ELi1ENSS_IJLi8ELi2EEEES1S_NSS_IJLi8ELi1ELi1ELi1EEEENSS_IJLi2ELi1ELi128ELi1EEEENSS_IJLi1ELi2ELi0ELi3EEEES1V_NSS_IJLi4ELi1ELi1ELi1EEEES1V_NSS_IJLi1ELi1ELi1ELi1EEEES1T_S1U_S1V_S1V_S1W_S1V_S1X_NSS_IJLi0ELi1ELi2ELi3ELi4ELi5EEEELi5ELi4EEEfNS5_IJPKfEEEfS8_S8_S9_NSB_INS5_IJSE_SG_SI_SG_SG_SK_SG_SM_SM_SO_SO_SQ_SG_SG_NSP_INS5_IJiNS_17integral_constantIiLi128EEEEEELb0EEENSF_INS23_IiLi1EEEEEEEENS5_IJST_SU_SV_SW_SX_SY_SZ_S10_S11_S12_S13_S14_S15_NSS_IJLi15EEEES1C_NSS_IJLi16EEEEEEENS5_IJS17_SX_SY_SZ_S18_S19_S1A_S12_S13_S15_S14_S1B_S1C_NSS_IJLi18EEEENSS_IJLi19ELi20EEEENSS_IJLi21EEEEEEENSS_IJLi18ELi19ELi20ELi21EEEElEENSB_INS5_IJSQ_SO_SO_SQ_SG_SG_S26_S28_EEENS5_IJST_SU_SV_SX_SW_SY_S18_SZ_EEENS5_IJS1I_SW_SX_S1J_S18_NSS_IJLi8EEEENSS_IJLi9ELi10EEEES12_EEENSS_IJLi8ELi9ELi10ELi11EEEElEENS5_IJNSB_INS5_IJSK_SO_SO_NSP_INS5_IJiNS23_IiLi2EEENS23_IiLi64EEEEEELb0EEES2T_EEENS5_IJST_SU_SV_SW_SX_EEENS5_IJS1I_SW_SX_NSS_IJLi5ELi6ELi7EEEENSS_IJLi8ELi9ELi10EEEEEEENSS_IJLi5ELi6ELi7ELi8ELi9ELi10EEEElEEEEES30_NS_31BlockToCTileMap_M00_N00_M01_N01ILi128ELi128ES1R_Lb0EEENS1_30ComputePtrOffsetOfStridedBatchILi1ELi1ELi1EvEELb1ELb0EEEvPKT0_S38_T1_PT2_T3_T4_T5_iT6_T7_T8_T9_T10_T11_
                                        ; -- End function
	.section	.AMDGPU.csdata,"",@progbits
; Kernel info:
; codeLenInByte = 2520
; NumSgprs: 62
; NumVgprs: 128
; NumAgprs: 12
; TotalNumVgprs: 140
; ScratchSize: 576
; MemoryBound: 0
; FloatMode: 240
; IeeeMode: 1
; LDSByteSize: 32768 bytes/workgroup (compile time only)
; SGPRBlocks: 7
; VGPRBlocks: 17
; NumSGPRsForWavesPerEU: 62
; NumVGPRsForWavesPerEU: 140
; AccumOffset: 128
; Occupancy: 2
; WaveLimiterHint : 1
; COMPUTE_PGM_RSRC2:SCRATCH_EN: 1
; COMPUTE_PGM_RSRC2:USER_SGPR: 8
; COMPUTE_PGM_RSRC2:TRAP_HANDLER: 0
; COMPUTE_PGM_RSRC2:TGID_X_EN: 1
; COMPUTE_PGM_RSRC2:TGID_Y_EN: 0
; COMPUTE_PGM_RSRC2:TGID_Z_EN: 0
; COMPUTE_PGM_RSRC2:TIDIG_COMP_CNT: 0
; COMPUTE_PGM_RSRC3_GFX90A:ACCUM_OFFSET: 31
; COMPUTE_PGM_RSRC3_GFX90A:TG_SPLIT: 0
	.section	.text._ZN2ck16tensor_operation6device12_GLOBAL__N_137kernel_grouped_conv_fwd_dl_multiple_dINS_32GridwiseGemmDlMultipleD_km_kn_mnILi256EffNS_5TupleIJfEEEfNS0_12element_wise11PassThroughES8_NS7_7AddReluELNS_25InMemoryDataOperationEnumE0ENS_16TensorDescriptorINS5_IJNS_5EmbedINS5_IJiiiEEESD_Lb0EEENS_11PassThroughIiEENS_3PadIiiiLb0EEESG_SG_NSC_INS5_IJiiEEESJ_Lb0EEESG_NS_23Merge_v2_magic_divisionISJ_EESM_NS_8RightPadIiiLb0EEESO_NS_7UnMergeISJ_Lb0EEESG_EEENS5_IJNS_8SequenceIJLi0EEEENSS_IJLi1EEEENSS_IJLi2EEEENSS_IJLi3EEEENSS_IJLi4EEEENSS_IJLi5EEEENSS_IJLi6EEEENSS_IJLi7ELi9EEEENSS_IJLi8ELi10EEEENSS_IJLi11EEEENSS_IJLi12EEEENSS_IJLi14EEEENSS_IJLi13EEEEEEENS5_IJNSS_IJLi1ELi2ELi3EEEESX_SY_SZ_NSS_IJLi7EEEENSS_IJLi8ELi9EEEENSS_IJLi10EEEES12_S13_S15_S14_NSS_IJLi15ELi16EEEENSS_IJLi17EEEEEEENSS_IJLi15ELi17ELi16EEEElEENSB_INS5_IJSQ_SO_SO_SQ_SG_EEENS5_IJST_SU_SV_SX_SW_EEENS5_IJNSS_IJLi1ELi2EEEESW_SX_NSS_IJLi5ELi6EEEES18_EEENSS_IJLi5ELi7ELi6EEEElEENSB_INS5_IJSK_SO_SO_EEENS5_IJST_SU_SV_EEENS5_IJS1I_SW_SX_EEENSS_IJLi3ELi4EEEElEELi128ELi128ELi16ELi1ELi4ELi4ELi1ENSS_IJLi8ELi2EEEES1S_NSS_IJLi8ELi1ELi1ELi1EEEENSS_IJLi2ELi1ELi128ELi1EEEENSS_IJLi1ELi2ELi0ELi3EEEES1V_NSS_IJLi4ELi1ELi1ELi1EEEES1V_NSS_IJLi1ELi1ELi1ELi1EEEES1T_S1U_S1V_S1V_S1W_S1V_S1X_NSS_IJLi0ELi1ELi2ELi3ELi4ELi5EEEELi5ELi4EEEfNS5_IJPKfEEEfS8_S8_S9_NSB_INS5_IJSE_SG_SI_SG_SG_SK_SG_SM_SM_SO_SO_SQ_SG_SG_NSP_INS5_IJiNS_17integral_constantIiLi128EEEEEELb0EEENSF_INS23_IiLi1EEEEEEEENS5_IJST_SU_SV_SW_SX_SY_SZ_S10_S11_S12_S13_S14_S15_NSS_IJLi15EEEES1C_NSS_IJLi16EEEEEEENS5_IJS17_SX_SY_SZ_S18_S19_S1A_S12_S13_S15_S14_S1B_S1C_NSS_IJLi18EEEENSS_IJLi19ELi20EEEENSS_IJLi21EEEEEEENSS_IJLi18ELi19ELi20ELi21EEEElEENSB_INS5_IJSQ_SO_SO_SQ_SG_SG_S26_S28_EEENS5_IJST_SU_SV_SX_SW_SY_S18_SZ_EEENS5_IJS1I_SW_SX_S1J_S18_NSS_IJLi8EEEENSS_IJLi9ELi10EEEES12_EEENSS_IJLi8ELi9ELi10ELi11EEEElEENS5_IJNSB_INS5_IJSK_SO_SO_NSP_INS5_IJiNS23_IiLi2EEENS23_IiLi64EEEEEELb0EEES2T_EEENS5_IJST_SU_SV_SW_SX_EEENS5_IJS1I_SW_SX_NSS_IJLi5ELi6ELi7EEEENSS_IJLi8ELi9ELi10EEEEEEENSS_IJLi5ELi6ELi7ELi8ELi9ELi10EEEElEEEEES30_NS_31BlockToCTileMap_M00_N00_M01_N01ILi128ELi128ES1R_Lb0EEENS1_30ComputePtrOffsetOfStridedBatchILi1ELi1ELi1EvEELb0ELb1EEEvPKT0_S38_T1_PT2_T3_T4_T5_iT6_T7_T8_T9_T10_T11_,"axG",@progbits,_ZN2ck16tensor_operation6device12_GLOBAL__N_137kernel_grouped_conv_fwd_dl_multiple_dINS_32GridwiseGemmDlMultipleD_km_kn_mnILi256EffNS_5TupleIJfEEEfNS0_12element_wise11PassThroughES8_NS7_7AddReluELNS_25InMemoryDataOperationEnumE0ENS_16TensorDescriptorINS5_IJNS_5EmbedINS5_IJiiiEEESD_Lb0EEENS_11PassThroughIiEENS_3PadIiiiLb0EEESG_SG_NSC_INS5_IJiiEEESJ_Lb0EEESG_NS_23Merge_v2_magic_divisionISJ_EESM_NS_8RightPadIiiLb0EEESO_NS_7UnMergeISJ_Lb0EEESG_EEENS5_IJNS_8SequenceIJLi0EEEENSS_IJLi1EEEENSS_IJLi2EEEENSS_IJLi3EEEENSS_IJLi4EEEENSS_IJLi5EEEENSS_IJLi6EEEENSS_IJLi7ELi9EEEENSS_IJLi8ELi10EEEENSS_IJLi11EEEENSS_IJLi12EEEENSS_IJLi14EEEENSS_IJLi13EEEEEEENS5_IJNSS_IJLi1ELi2ELi3EEEESX_SY_SZ_NSS_IJLi7EEEENSS_IJLi8ELi9EEEENSS_IJLi10EEEES12_S13_S15_S14_NSS_IJLi15ELi16EEEENSS_IJLi17EEEEEEENSS_IJLi15ELi17ELi16EEEElEENSB_INS5_IJSQ_SO_SO_SQ_SG_EEENS5_IJST_SU_SV_SX_SW_EEENS5_IJNSS_IJLi1ELi2EEEESW_SX_NSS_IJLi5ELi6EEEES18_EEENSS_IJLi5ELi7ELi6EEEElEENSB_INS5_IJSK_SO_SO_EEENS5_IJST_SU_SV_EEENS5_IJS1I_SW_SX_EEENSS_IJLi3ELi4EEEElEELi128ELi128ELi16ELi1ELi4ELi4ELi1ENSS_IJLi8ELi2EEEES1S_NSS_IJLi8ELi1ELi1ELi1EEEENSS_IJLi2ELi1ELi128ELi1EEEENSS_IJLi1ELi2ELi0ELi3EEEES1V_NSS_IJLi4ELi1ELi1ELi1EEEES1V_NSS_IJLi1ELi1ELi1ELi1EEEES1T_S1U_S1V_S1V_S1W_S1V_S1X_NSS_IJLi0ELi1ELi2ELi3ELi4ELi5EEEELi5ELi4EEEfNS5_IJPKfEEEfS8_S8_S9_NSB_INS5_IJSE_SG_SI_SG_SG_SK_SG_SM_SM_SO_SO_SQ_SG_SG_NSP_INS5_IJiNS_17integral_constantIiLi128EEEEEELb0EEENSF_INS23_IiLi1EEEEEEEENS5_IJST_SU_SV_SW_SX_SY_SZ_S10_S11_S12_S13_S14_S15_NSS_IJLi15EEEES1C_NSS_IJLi16EEEEEEENS5_IJS17_SX_SY_SZ_S18_S19_S1A_S12_S13_S15_S14_S1B_S1C_NSS_IJLi18EEEENSS_IJLi19ELi20EEEENSS_IJLi21EEEEEEENSS_IJLi18ELi19ELi20ELi21EEEElEENSB_INS5_IJSQ_SO_SO_SQ_SG_SG_S26_S28_EEENS5_IJST_SU_SV_SX_SW_SY_S18_SZ_EEENS5_IJS1I_SW_SX_S1J_S18_NSS_IJLi8EEEENSS_IJLi9ELi10EEEES12_EEENSS_IJLi8ELi9ELi10ELi11EEEElEENS5_IJNSB_INS5_IJSK_SO_SO_NSP_INS5_IJiNS23_IiLi2EEENS23_IiLi64EEEEEELb0EEES2T_EEENS5_IJST_SU_SV_SW_SX_EEENS5_IJS1I_SW_SX_NSS_IJLi5ELi6ELi7EEEENSS_IJLi8ELi9ELi10EEEEEEENSS_IJLi5ELi6ELi7ELi8ELi9ELi10EEEElEEEEES30_NS_31BlockToCTileMap_M00_N00_M01_N01ILi128ELi128ES1R_Lb0EEENS1_30ComputePtrOffsetOfStridedBatchILi1ELi1ELi1EvEELb0ELb1EEEvPKT0_S38_T1_PT2_T3_T4_T5_iT6_T7_T8_T9_T10_T11_,comdat
	.globl	_ZN2ck16tensor_operation6device12_GLOBAL__N_137kernel_grouped_conv_fwd_dl_multiple_dINS_32GridwiseGemmDlMultipleD_km_kn_mnILi256EffNS_5TupleIJfEEEfNS0_12element_wise11PassThroughES8_NS7_7AddReluELNS_25InMemoryDataOperationEnumE0ENS_16TensorDescriptorINS5_IJNS_5EmbedINS5_IJiiiEEESD_Lb0EEENS_11PassThroughIiEENS_3PadIiiiLb0EEESG_SG_NSC_INS5_IJiiEEESJ_Lb0EEESG_NS_23Merge_v2_magic_divisionISJ_EESM_NS_8RightPadIiiLb0EEESO_NS_7UnMergeISJ_Lb0EEESG_EEENS5_IJNS_8SequenceIJLi0EEEENSS_IJLi1EEEENSS_IJLi2EEEENSS_IJLi3EEEENSS_IJLi4EEEENSS_IJLi5EEEENSS_IJLi6EEEENSS_IJLi7ELi9EEEENSS_IJLi8ELi10EEEENSS_IJLi11EEEENSS_IJLi12EEEENSS_IJLi14EEEENSS_IJLi13EEEEEEENS5_IJNSS_IJLi1ELi2ELi3EEEESX_SY_SZ_NSS_IJLi7EEEENSS_IJLi8ELi9EEEENSS_IJLi10EEEES12_S13_S15_S14_NSS_IJLi15ELi16EEEENSS_IJLi17EEEEEEENSS_IJLi15ELi17ELi16EEEElEENSB_INS5_IJSQ_SO_SO_SQ_SG_EEENS5_IJST_SU_SV_SX_SW_EEENS5_IJNSS_IJLi1ELi2EEEESW_SX_NSS_IJLi5ELi6EEEES18_EEENSS_IJLi5ELi7ELi6EEEElEENSB_INS5_IJSK_SO_SO_EEENS5_IJST_SU_SV_EEENS5_IJS1I_SW_SX_EEENSS_IJLi3ELi4EEEElEELi128ELi128ELi16ELi1ELi4ELi4ELi1ENSS_IJLi8ELi2EEEES1S_NSS_IJLi8ELi1ELi1ELi1EEEENSS_IJLi2ELi1ELi128ELi1EEEENSS_IJLi1ELi2ELi0ELi3EEEES1V_NSS_IJLi4ELi1ELi1ELi1EEEES1V_NSS_IJLi1ELi1ELi1ELi1EEEES1T_S1U_S1V_S1V_S1W_S1V_S1X_NSS_IJLi0ELi1ELi2ELi3ELi4ELi5EEEELi5ELi4EEEfNS5_IJPKfEEEfS8_S8_S9_NSB_INS5_IJSE_SG_SI_SG_SG_SK_SG_SM_SM_SO_SO_SQ_SG_SG_NSP_INS5_IJiNS_17integral_constantIiLi128EEEEEELb0EEENSF_INS23_IiLi1EEEEEEEENS5_IJST_SU_SV_SW_SX_SY_SZ_S10_S11_S12_S13_S14_S15_NSS_IJLi15EEEES1C_NSS_IJLi16EEEEEEENS5_IJS17_SX_SY_SZ_S18_S19_S1A_S12_S13_S15_S14_S1B_S1C_NSS_IJLi18EEEENSS_IJLi19ELi20EEEENSS_IJLi21EEEEEEENSS_IJLi18ELi19ELi20ELi21EEEElEENSB_INS5_IJSQ_SO_SO_SQ_SG_SG_S26_S28_EEENS5_IJST_SU_SV_SX_SW_SY_S18_SZ_EEENS5_IJS1I_SW_SX_S1J_S18_NSS_IJLi8EEEENSS_IJLi9ELi10EEEES12_EEENSS_IJLi8ELi9ELi10ELi11EEEElEENS5_IJNSB_INS5_IJSK_SO_SO_NSP_INS5_IJiNS23_IiLi2EEENS23_IiLi64EEEEEELb0EEES2T_EEENS5_IJST_SU_SV_SW_SX_EEENS5_IJS1I_SW_SX_NSS_IJLi5ELi6ELi7EEEENSS_IJLi8ELi9ELi10EEEEEEENSS_IJLi5ELi6ELi7ELi8ELi9ELi10EEEElEEEEES30_NS_31BlockToCTileMap_M00_N00_M01_N01ILi128ELi128ES1R_Lb0EEENS1_30ComputePtrOffsetOfStridedBatchILi1ELi1ELi1EvEELb0ELb1EEEvPKT0_S38_T1_PT2_T3_T4_T5_iT6_T7_T8_T9_T10_T11_ ; -- Begin function _ZN2ck16tensor_operation6device12_GLOBAL__N_137kernel_grouped_conv_fwd_dl_multiple_dINS_32GridwiseGemmDlMultipleD_km_kn_mnILi256EffNS_5TupleIJfEEEfNS0_12element_wise11PassThroughES8_NS7_7AddReluELNS_25InMemoryDataOperationEnumE0ENS_16TensorDescriptorINS5_IJNS_5EmbedINS5_IJiiiEEESD_Lb0EEENS_11PassThroughIiEENS_3PadIiiiLb0EEESG_SG_NSC_INS5_IJiiEEESJ_Lb0EEESG_NS_23Merge_v2_magic_divisionISJ_EESM_NS_8RightPadIiiLb0EEESO_NS_7UnMergeISJ_Lb0EEESG_EEENS5_IJNS_8SequenceIJLi0EEEENSS_IJLi1EEEENSS_IJLi2EEEENSS_IJLi3EEEENSS_IJLi4EEEENSS_IJLi5EEEENSS_IJLi6EEEENSS_IJLi7ELi9EEEENSS_IJLi8ELi10EEEENSS_IJLi11EEEENSS_IJLi12EEEENSS_IJLi14EEEENSS_IJLi13EEEEEEENS5_IJNSS_IJLi1ELi2ELi3EEEESX_SY_SZ_NSS_IJLi7EEEENSS_IJLi8ELi9EEEENSS_IJLi10EEEES12_S13_S15_S14_NSS_IJLi15ELi16EEEENSS_IJLi17EEEEEEENSS_IJLi15ELi17ELi16EEEElEENSB_INS5_IJSQ_SO_SO_SQ_SG_EEENS5_IJST_SU_SV_SX_SW_EEENS5_IJNSS_IJLi1ELi2EEEESW_SX_NSS_IJLi5ELi6EEEES18_EEENSS_IJLi5ELi7ELi6EEEElEENSB_INS5_IJSK_SO_SO_EEENS5_IJST_SU_SV_EEENS5_IJS1I_SW_SX_EEENSS_IJLi3ELi4EEEElEELi128ELi128ELi16ELi1ELi4ELi4ELi1ENSS_IJLi8ELi2EEEES1S_NSS_IJLi8ELi1ELi1ELi1EEEENSS_IJLi2ELi1ELi128ELi1EEEENSS_IJLi1ELi2ELi0ELi3EEEES1V_NSS_IJLi4ELi1ELi1ELi1EEEES1V_NSS_IJLi1ELi1ELi1ELi1EEEES1T_S1U_S1V_S1V_S1W_S1V_S1X_NSS_IJLi0ELi1ELi2ELi3ELi4ELi5EEEELi5ELi4EEEfNS5_IJPKfEEEfS8_S8_S9_NSB_INS5_IJSE_SG_SI_SG_SG_SK_SG_SM_SM_SO_SO_SQ_SG_SG_NSP_INS5_IJiNS_17integral_constantIiLi128EEEEEELb0EEENSF_INS23_IiLi1EEEEEEEENS5_IJST_SU_SV_SW_SX_SY_SZ_S10_S11_S12_S13_S14_S15_NSS_IJLi15EEEES1C_NSS_IJLi16EEEEEEENS5_IJS17_SX_SY_SZ_S18_S19_S1A_S12_S13_S15_S14_S1B_S1C_NSS_IJLi18EEEENSS_IJLi19ELi20EEEENSS_IJLi21EEEEEEENSS_IJLi18ELi19ELi20ELi21EEEElEENSB_INS5_IJSQ_SO_SO_SQ_SG_SG_S26_S28_EEENS5_IJST_SU_SV_SX_SW_SY_S18_SZ_EEENS5_IJS1I_SW_SX_S1J_S18_NSS_IJLi8EEEENSS_IJLi9ELi10EEEES12_EEENSS_IJLi8ELi9ELi10ELi11EEEElEENS5_IJNSB_INS5_IJSK_SO_SO_NSP_INS5_IJiNS23_IiLi2EEENS23_IiLi64EEEEEELb0EEES2T_EEENS5_IJST_SU_SV_SW_SX_EEENS5_IJS1I_SW_SX_NSS_IJLi5ELi6ELi7EEEENSS_IJLi8ELi9ELi10EEEEEEENSS_IJLi5ELi6ELi7ELi8ELi9ELi10EEEElEEEEES30_NS_31BlockToCTileMap_M00_N00_M01_N01ILi128ELi128ES1R_Lb0EEENS1_30ComputePtrOffsetOfStridedBatchILi1ELi1ELi1EvEELb0ELb1EEEvPKT0_S38_T1_PT2_T3_T4_T5_iT6_T7_T8_T9_T10_T11_
	.p2align	8
	.type	_ZN2ck16tensor_operation6device12_GLOBAL__N_137kernel_grouped_conv_fwd_dl_multiple_dINS_32GridwiseGemmDlMultipleD_km_kn_mnILi256EffNS_5TupleIJfEEEfNS0_12element_wise11PassThroughES8_NS7_7AddReluELNS_25InMemoryDataOperationEnumE0ENS_16TensorDescriptorINS5_IJNS_5EmbedINS5_IJiiiEEESD_Lb0EEENS_11PassThroughIiEENS_3PadIiiiLb0EEESG_SG_NSC_INS5_IJiiEEESJ_Lb0EEESG_NS_23Merge_v2_magic_divisionISJ_EESM_NS_8RightPadIiiLb0EEESO_NS_7UnMergeISJ_Lb0EEESG_EEENS5_IJNS_8SequenceIJLi0EEEENSS_IJLi1EEEENSS_IJLi2EEEENSS_IJLi3EEEENSS_IJLi4EEEENSS_IJLi5EEEENSS_IJLi6EEEENSS_IJLi7ELi9EEEENSS_IJLi8ELi10EEEENSS_IJLi11EEEENSS_IJLi12EEEENSS_IJLi14EEEENSS_IJLi13EEEEEEENS5_IJNSS_IJLi1ELi2ELi3EEEESX_SY_SZ_NSS_IJLi7EEEENSS_IJLi8ELi9EEEENSS_IJLi10EEEES12_S13_S15_S14_NSS_IJLi15ELi16EEEENSS_IJLi17EEEEEEENSS_IJLi15ELi17ELi16EEEElEENSB_INS5_IJSQ_SO_SO_SQ_SG_EEENS5_IJST_SU_SV_SX_SW_EEENS5_IJNSS_IJLi1ELi2EEEESW_SX_NSS_IJLi5ELi6EEEES18_EEENSS_IJLi5ELi7ELi6EEEElEENSB_INS5_IJSK_SO_SO_EEENS5_IJST_SU_SV_EEENS5_IJS1I_SW_SX_EEENSS_IJLi3ELi4EEEElEELi128ELi128ELi16ELi1ELi4ELi4ELi1ENSS_IJLi8ELi2EEEES1S_NSS_IJLi8ELi1ELi1ELi1EEEENSS_IJLi2ELi1ELi128ELi1EEEENSS_IJLi1ELi2ELi0ELi3EEEES1V_NSS_IJLi4ELi1ELi1ELi1EEEES1V_NSS_IJLi1ELi1ELi1ELi1EEEES1T_S1U_S1V_S1V_S1W_S1V_S1X_NSS_IJLi0ELi1ELi2ELi3ELi4ELi5EEEELi5ELi4EEEfNS5_IJPKfEEEfS8_S8_S9_NSB_INS5_IJSE_SG_SI_SG_SG_SK_SG_SM_SM_SO_SO_SQ_SG_SG_NSP_INS5_IJiNS_17integral_constantIiLi128EEEEEELb0EEENSF_INS23_IiLi1EEEEEEEENS5_IJST_SU_SV_SW_SX_SY_SZ_S10_S11_S12_S13_S14_S15_NSS_IJLi15EEEES1C_NSS_IJLi16EEEEEEENS5_IJS17_SX_SY_SZ_S18_S19_S1A_S12_S13_S15_S14_S1B_S1C_NSS_IJLi18EEEENSS_IJLi19ELi20EEEENSS_IJLi21EEEEEEENSS_IJLi18ELi19ELi20ELi21EEEElEENSB_INS5_IJSQ_SO_SO_SQ_SG_SG_S26_S28_EEENS5_IJST_SU_SV_SX_SW_SY_S18_SZ_EEENS5_IJS1I_SW_SX_S1J_S18_NSS_IJLi8EEEENSS_IJLi9ELi10EEEES12_EEENSS_IJLi8ELi9ELi10ELi11EEEElEENS5_IJNSB_INS5_IJSK_SO_SO_NSP_INS5_IJiNS23_IiLi2EEENS23_IiLi64EEEEEELb0EEES2T_EEENS5_IJST_SU_SV_SW_SX_EEENS5_IJS1I_SW_SX_NSS_IJLi5ELi6ELi7EEEENSS_IJLi8ELi9ELi10EEEEEEENSS_IJLi5ELi6ELi7ELi8ELi9ELi10EEEElEEEEES30_NS_31BlockToCTileMap_M00_N00_M01_N01ILi128ELi128ES1R_Lb0EEENS1_30ComputePtrOffsetOfStridedBatchILi1ELi1ELi1EvEELb0ELb1EEEvPKT0_S38_T1_PT2_T3_T4_T5_iT6_T7_T8_T9_T10_T11_,@function
_ZN2ck16tensor_operation6device12_GLOBAL__N_137kernel_grouped_conv_fwd_dl_multiple_dINS_32GridwiseGemmDlMultipleD_km_kn_mnILi256EffNS_5TupleIJfEEEfNS0_12element_wise11PassThroughES8_NS7_7AddReluELNS_25InMemoryDataOperationEnumE0ENS_16TensorDescriptorINS5_IJNS_5EmbedINS5_IJiiiEEESD_Lb0EEENS_11PassThroughIiEENS_3PadIiiiLb0EEESG_SG_NSC_INS5_IJiiEEESJ_Lb0EEESG_NS_23Merge_v2_magic_divisionISJ_EESM_NS_8RightPadIiiLb0EEESO_NS_7UnMergeISJ_Lb0EEESG_EEENS5_IJNS_8SequenceIJLi0EEEENSS_IJLi1EEEENSS_IJLi2EEEENSS_IJLi3EEEENSS_IJLi4EEEENSS_IJLi5EEEENSS_IJLi6EEEENSS_IJLi7ELi9EEEENSS_IJLi8ELi10EEEENSS_IJLi11EEEENSS_IJLi12EEEENSS_IJLi14EEEENSS_IJLi13EEEEEEENS5_IJNSS_IJLi1ELi2ELi3EEEESX_SY_SZ_NSS_IJLi7EEEENSS_IJLi8ELi9EEEENSS_IJLi10EEEES12_S13_S15_S14_NSS_IJLi15ELi16EEEENSS_IJLi17EEEEEEENSS_IJLi15ELi17ELi16EEEElEENSB_INS5_IJSQ_SO_SO_SQ_SG_EEENS5_IJST_SU_SV_SX_SW_EEENS5_IJNSS_IJLi1ELi2EEEESW_SX_NSS_IJLi5ELi6EEEES18_EEENSS_IJLi5ELi7ELi6EEEElEENSB_INS5_IJSK_SO_SO_EEENS5_IJST_SU_SV_EEENS5_IJS1I_SW_SX_EEENSS_IJLi3ELi4EEEElEELi128ELi128ELi16ELi1ELi4ELi4ELi1ENSS_IJLi8ELi2EEEES1S_NSS_IJLi8ELi1ELi1ELi1EEEENSS_IJLi2ELi1ELi128ELi1EEEENSS_IJLi1ELi2ELi0ELi3EEEES1V_NSS_IJLi4ELi1ELi1ELi1EEEES1V_NSS_IJLi1ELi1ELi1ELi1EEEES1T_S1U_S1V_S1V_S1W_S1V_S1X_NSS_IJLi0ELi1ELi2ELi3ELi4ELi5EEEELi5ELi4EEEfNS5_IJPKfEEEfS8_S8_S9_NSB_INS5_IJSE_SG_SI_SG_SG_SK_SG_SM_SM_SO_SO_SQ_SG_SG_NSP_INS5_IJiNS_17integral_constantIiLi128EEEEEELb0EEENSF_INS23_IiLi1EEEEEEEENS5_IJST_SU_SV_SW_SX_SY_SZ_S10_S11_S12_S13_S14_S15_NSS_IJLi15EEEES1C_NSS_IJLi16EEEEEEENS5_IJS17_SX_SY_SZ_S18_S19_S1A_S12_S13_S15_S14_S1B_S1C_NSS_IJLi18EEEENSS_IJLi19ELi20EEEENSS_IJLi21EEEEEEENSS_IJLi18ELi19ELi20ELi21EEEElEENSB_INS5_IJSQ_SO_SO_SQ_SG_SG_S26_S28_EEENS5_IJST_SU_SV_SX_SW_SY_S18_SZ_EEENS5_IJS1I_SW_SX_S1J_S18_NSS_IJLi8EEEENSS_IJLi9ELi10EEEES12_EEENSS_IJLi8ELi9ELi10ELi11EEEElEENS5_IJNSB_INS5_IJSK_SO_SO_NSP_INS5_IJiNS23_IiLi2EEENS23_IiLi64EEEEEELb0EEES2T_EEENS5_IJST_SU_SV_SW_SX_EEENS5_IJS1I_SW_SX_NSS_IJLi5ELi6ELi7EEEENSS_IJLi8ELi9ELi10EEEEEEENSS_IJLi5ELi6ELi7ELi8ELi9ELi10EEEElEEEEES30_NS_31BlockToCTileMap_M00_N00_M01_N01ILi128ELi128ES1R_Lb0EEENS1_30ComputePtrOffsetOfStridedBatchILi1ELi1ELi1EvEELb0ELb1EEEvPKT0_S38_T1_PT2_T3_T4_T5_iT6_T7_T8_T9_T10_T11_: ; @_ZN2ck16tensor_operation6device12_GLOBAL__N_137kernel_grouped_conv_fwd_dl_multiple_dINS_32GridwiseGemmDlMultipleD_km_kn_mnILi256EffNS_5TupleIJfEEEfNS0_12element_wise11PassThroughES8_NS7_7AddReluELNS_25InMemoryDataOperationEnumE0ENS_16TensorDescriptorINS5_IJNS_5EmbedINS5_IJiiiEEESD_Lb0EEENS_11PassThroughIiEENS_3PadIiiiLb0EEESG_SG_NSC_INS5_IJiiEEESJ_Lb0EEESG_NS_23Merge_v2_magic_divisionISJ_EESM_NS_8RightPadIiiLb0EEESO_NS_7UnMergeISJ_Lb0EEESG_EEENS5_IJNS_8SequenceIJLi0EEEENSS_IJLi1EEEENSS_IJLi2EEEENSS_IJLi3EEEENSS_IJLi4EEEENSS_IJLi5EEEENSS_IJLi6EEEENSS_IJLi7ELi9EEEENSS_IJLi8ELi10EEEENSS_IJLi11EEEENSS_IJLi12EEEENSS_IJLi14EEEENSS_IJLi13EEEEEEENS5_IJNSS_IJLi1ELi2ELi3EEEESX_SY_SZ_NSS_IJLi7EEEENSS_IJLi8ELi9EEEENSS_IJLi10EEEES12_S13_S15_S14_NSS_IJLi15ELi16EEEENSS_IJLi17EEEEEEENSS_IJLi15ELi17ELi16EEEElEENSB_INS5_IJSQ_SO_SO_SQ_SG_EEENS5_IJST_SU_SV_SX_SW_EEENS5_IJNSS_IJLi1ELi2EEEESW_SX_NSS_IJLi5ELi6EEEES18_EEENSS_IJLi5ELi7ELi6EEEElEENSB_INS5_IJSK_SO_SO_EEENS5_IJST_SU_SV_EEENS5_IJS1I_SW_SX_EEENSS_IJLi3ELi4EEEElEELi128ELi128ELi16ELi1ELi4ELi4ELi1ENSS_IJLi8ELi2EEEES1S_NSS_IJLi8ELi1ELi1ELi1EEEENSS_IJLi2ELi1ELi128ELi1EEEENSS_IJLi1ELi2ELi0ELi3EEEES1V_NSS_IJLi4ELi1ELi1ELi1EEEES1V_NSS_IJLi1ELi1ELi1ELi1EEEES1T_S1U_S1V_S1V_S1W_S1V_S1X_NSS_IJLi0ELi1ELi2ELi3ELi4ELi5EEEELi5ELi4EEEfNS5_IJPKfEEEfS8_S8_S9_NSB_INS5_IJSE_SG_SI_SG_SG_SK_SG_SM_SM_SO_SO_SQ_SG_SG_NSP_INS5_IJiNS_17integral_constantIiLi128EEEEEELb0EEENSF_INS23_IiLi1EEEEEEEENS5_IJST_SU_SV_SW_SX_SY_SZ_S10_S11_S12_S13_S14_S15_NSS_IJLi15EEEES1C_NSS_IJLi16EEEEEEENS5_IJS17_SX_SY_SZ_S18_S19_S1A_S12_S13_S15_S14_S1B_S1C_NSS_IJLi18EEEENSS_IJLi19ELi20EEEENSS_IJLi21EEEEEEENSS_IJLi18ELi19ELi20ELi21EEEElEENSB_INS5_IJSQ_SO_SO_SQ_SG_SG_S26_S28_EEENS5_IJST_SU_SV_SX_SW_SY_S18_SZ_EEENS5_IJS1I_SW_SX_S1J_S18_NSS_IJLi8EEEENSS_IJLi9ELi10EEEES12_EEENSS_IJLi8ELi9ELi10ELi11EEEElEENS5_IJNSB_INS5_IJSK_SO_SO_NSP_INS5_IJiNS23_IiLi2EEENS23_IiLi64EEEEEELb0EEES2T_EEENS5_IJST_SU_SV_SW_SX_EEENS5_IJS1I_SW_SX_NSS_IJLi5ELi6ELi7EEEENSS_IJLi8ELi9ELi10EEEEEEENSS_IJLi5ELi6ELi7ELi8ELi9ELi10EEEElEEEEES30_NS_31BlockToCTileMap_M00_N00_M01_N01ILi128ELi128ES1R_Lb0EEENS1_30ComputePtrOffsetOfStridedBatchILi1ELi1ELi1EvEELb0ELb1EEEvPKT0_S38_T1_PT2_T3_T4_T5_iT6_T7_T8_T9_T10_T11_
; %bb.0:
	s_load_dword s0, s[4:5], 0x24
	s_load_dwordx8 s[16:23], s[4:5], 0x0
	s_load_dwordx8 s[8:15], s[4:5], 0x34
	s_load_dwordx2 s[34:35], s[4:5], 0x60
	s_waitcnt lgkmcnt(0)
	s_load_dword s15, s[4:5], 0x70
	s_load_dword s54, s[4:5], 0x78
	;; [unrolled: 1-line block ×15, first 2 shown]
	s_abs_i32 s1, s0
	v_cvt_f32_u32_e32 v1, s1
	s_sub_i32 s3, 0, s1
	s_waitcnt lgkmcnt(0)
	s_xor_b32 s0, s2, s0
	s_abs_i32 s2, s2
	v_rcp_iflag_f32_e32 v1, v1
	s_ashr_i32 s0, s0, 31
	v_lshlrev_b32_e32 v2, 3, v0
	v_and_b32_e32 v21, 8, v2
	v_mul_f32_e32 v1, 0x4f7ffffe, v1
	v_cvt_u32_f32_e32 v1, v1
	v_mul_lo_u32 v23, s48, v21
	v_mul_hi_u32 v2, v23, s47
	v_add_u32_e32 v2, v23, v2
	v_readfirstlane_b32 s11, v1
	s_mul_i32 s3, s3, s11
	s_mul_hi_u32 s3, s11, s3
	s_add_i32 s11, s11, s3
	s_mul_hi_u32 s3, s2, s11
	s_mul_i32 s11, s3, s1
	s_sub_i32 s2, s2, s11
	s_add_i32 s11, s3, 1
	s_sub_i32 s24, s2, s1
	s_cmp_ge_u32 s2, s1
	s_cselect_b32 s3, s11, s3
	s_cselect_b32 s2, s24, s2
	s_add_i32 s11, s3, 1
	s_cmp_ge_u32 s2, s1
	s_cselect_b32 s1, s11, s3
	s_xor_b32 s1, s1, s0
	s_sub_i32 s11, s1, s0
	s_abs_i32 s52, s11
	v_cvt_f32_u32_e32 v1, s52
	s_sub_i32 s59, 0, s52
	s_abs_i32 s53, s6
	s_xor_b32 s11, s6, s11
	v_rcp_iflag_f32_e32 v1, v1
	s_ashr_i32 s11, s11, 31
	s_load_dword s57, s[4:5], 0x204
	s_load_dword s58, s[4:5], 0x214
	s_load_dwordx4 s[0:3], s[4:5], 0x220
	s_load_dwordx4 s[36:39], s[4:5], 0x234
	;; [unrolled: 1-line block ×3, first 2 shown]
	s_load_dwordx8 s[24:31], s[4:5], 0x260
	v_mul_f32_e32 v1, 0x4f7ffffe, v1
	v_cvt_u32_f32_e32 v1, v1
	v_lshrrev_b32_e32 v6, s46, v2
	v_mul_lo_u32 v2, v6, s45
	v_sub_u32_e32 v7, v23, v2
	v_readfirstlane_b32 s60, v1
	s_mul_i32 s59, s59, s60
	s_mul_hi_u32 s59, s60, s59
	s_add_i32 s60, s60, s59
	s_mul_hi_u32 s59, s53, s60
	s_mul_i32 s60, s59, s52
	s_sub_i32 s53, s53, s60
	s_add_i32 s60, s59, 1
	s_sub_i32 s61, s53, s52
	s_cmp_ge_u32 s53, s52
	s_cselect_b32 s59, s60, s59
	s_cselect_b32 s53, s61, s53
	s_add_i32 s60, s59, 1
	s_cmp_ge_u32 s53, s52
	s_cselect_b32 s52, s60, s59
	s_xor_b32 s52, s52, s11
	s_sub_i32 s11, s52, s11
	s_ashr_i32 s59, s11, 31
	s_waitcnt lgkmcnt(0)
	s_mul_i32 s52, s24, s59
	s_mul_hi_u32 s53, s24, s11
	s_add_i32 s52, s53, s52
	s_mul_i32 s25, s25, s11
	s_add_i32 s53, s52, s25
	s_mul_i32 s52, s24, s11
	s_mul_i32 s24, s26, s59
	s_mul_hi_u32 s25, s26, s11
	s_add_i32 s24, s25, s24
	s_mul_i32 s25, s27, s11
	s_add_i32 s27, s24, s25
	s_mul_i32 s24, s30, s59
	s_mul_hi_u32 s25, s30, s11
	s_add_i32 s24, s25, s24
	s_mul_i32 s25, s31, s11
	s_add_i32 s31, s24, s25
	;; [unrolled: 5-line block ×3, first 2 shown]
	s_mul_i32 s24, s28, s11
	s_lshl_b64 s[24:25], s[24:25], 2
	s_add_u32 s24, s20, s24
	s_addc_u32 s25, s21, s25
	s_lshl_b64 s[20:21], s[52:53], 2
	s_mul_i32 s26, s26, s11
	s_add_u32 s20, s16, s20
	s_addc_u32 s21, s17, s21
	s_lshl_b64 s[16:17], s[26:27], 2
	s_mul_i32 s30, s30, s11
	s_add_u32 s28, s18, s16
	s_addc_u32 s29, s19, s17
	s_lshl_b64 s[16:17], s[30:31], 2
	s_add_u32 s16, s22, s16
	s_mul_hi_u32 s11, s39, s6
	s_addc_u32 s17, s23, s17
	s_add_i32 s11, s6, s11
	s_lshr_b32 s11, s11, s43
	s_mul_i32 s3, s11, s3
	s_sub_i32 s3, s6, s3
	s_mul_hi_u32 s6, s11, s38
	s_add_i32 s6, s11, s6
	s_lshr_b32 s6, s6, s42
	s_mul_i32 s2, s6, s2
	s_sub_i32 s2, s11, s2
	s_mul_hi_u32 s11, s6, s37
	;; [unrolled: 5-line block ×3, first 2 shown]
	s_add_i32 s6, s11, s6
	s_lshr_b32 s6, s6, s40
	s_mul_i32 s6, s6, s0
	s_sub_i32 s0, s11, s6
	s_mul_i32 s0, s0, s57
	s_add_i32 s2, s2, s0
	v_lshrrev_b32_e32 v1, 1, v0
	s_lshl_b32 s11, s2, 7
	v_or_b32_e32 v22, s11, v1
	v_mul_hi_u32 v2, v22, s54
	v_add_u32_e32 v2, v22, v2
	v_lshrrev_b32_e32 v3, s55, v2
	v_mul_lo_u32 v2, v3, s15
	s_mul_i32 s1, s1, s58
	v_sub_u32_e32 v4, v22, v2
	v_mul_lo_u32 v2, v6, s34
	s_add_i32 s3, s3, s1
	v_mad_u64_u32 v[18:19], s[0:1], v4, s35, v[2:3]
	v_subrev_u32_e32 v2, s13, v18
	v_mul_lo_u32 v3, v3, s8
	s_lshl_b32 s8, s48, 2
	v_mul_lo_u32 v2, v2, s9
	v_mul_lo_u32 v4, v7, s10
	v_add_u32_e32 v24, s8, v23
	v_add3_u32 v8, v3, v4, v2
	v_mul_hi_u32 v3, v24, s47
	v_add_u32_e32 v9, v24, v3
	v_lshrrev_b32_e32 v25, s46, v9
	v_mul_lo_u32 v9, v25, s45
	v_sub_u32_e32 v26, v24, v9
	v_sub_u32_e32 v6, v25, v6
	s_lshl_b32 s22, s56, 2
	s_mov_b32 s23, 0x20000
	v_lshlrev_b32_e32 v2, 2, v8
	v_sub_u32_e32 v7, v26, v7
	v_mul_lo_u32 v27, v6, s34
	buffer_load_dwordx4 v[2:5], v2, s[20:23], 0 offen
	v_mul_lo_u32 v6, v27, s9
	v_mul_lo_u32 v7, v7, s10
	s_lshl_b32 s15, s3, 7
	v_add3_u32 v28, v7, v6, v8
	v_or_b32_e32 v19, s15, v1
	v_lshlrev_b32_e32 v6, 2, v28
	buffer_load_dwordx4 v[6:9], v6, s[20:23], 0 offen
	v_mul_lo_u32 v20, s44, v21
	v_mad_u64_u32 v[14:15], s[0:1], v19, s51, v[20:21]
	s_lshl_b32 s30, s50, 2
	s_mov_b32 s31, s23
	v_lshlrev_b32_e32 v10, 2, v14
	s_lshl_b32 s18, s44, 2
	buffer_load_dwordx4 v[10:13], v10, s[28:31], 0 offen
	v_add_u32_e32 v29, s18, v14
	v_lshlrev_b32_e32 v14, 2, v29
	buffer_load_dwordx4 v[14:17], v14, s[28:31], 0 offen
	s_load_dword s19, s[4:5], 0xb4
	s_sub_i32 s12, s12, s14
	v_cmp_gt_i32_e32 vcc, s7, v22
	v_cmp_le_i32_e64 s[2:3], s13, v18
	v_cmp_gt_i32_e64 s[6:7], s12, v18
	s_waitcnt lgkmcnt(0)
	v_cmp_gt_i32_e64 s[0:1], s19, v23
	s_and_b64 s[2:3], s[2:3], s[6:7]
	s_and_b64 s[0:1], s[0:1], s[2:3]
	v_add_u32_e32 v18, v18, v27
	s_and_b64 s[0:1], vcc, s[0:1]
	v_cmp_le_i32_e64 s[2:3], s13, v18
	v_cmp_gt_i32_e64 s[6:7], s12, v18
	s_and_b64 s[2:3], s[2:3], s[6:7]
	v_lshlrev_b32_e32 v1, 2, v1
	v_lshl_or_b32 v68, v21, 9, v1
	v_or_b32_e32 v1, 16, v21
	v_mul_lo_u32 v1, s48, v1
	v_add_u32_e32 v21, s8, v1
	s_mul_i32 s44, s44, 12
	v_lshrrev_b32_e32 v23, 5, v0
	v_mov_b32_e32 v27, 0
	v_mov_b32_e32 v60, 0
	;; [unrolled: 1-line block ×27, first 2 shown]
	s_mov_b32 s27, s23
	s_waitcnt vmcnt(3)
	v_cndmask_b32_e64 v5, 0, v5, s[0:1]
	v_cndmask_b32_e64 v4, 0, v4, s[0:1]
	;; [unrolled: 1-line block ×4, first 2 shown]
	v_cmp_gt_i32_e64 s[0:1], s19, v24
	s_and_b64 s[0:1], s[0:1], s[2:3]
	s_and_b64 s[0:1], vcc, s[0:1]
	s_waitcnt vmcnt(2)
	v_cndmask_b32_e64 v9, 0, v9, s[0:1]
	v_cndmask_b32_e64 v8, 0, v8, s[0:1]
	;; [unrolled: 1-line block ×4, first 2 shown]
	v_cmp_gt_i32_e64 s[2:3], s33, v20
	v_cmp_gt_i32_e64 s[0:1], s49, v19
	s_and_b64 s[2:3], s[2:3], s[0:1]
	v_add_u32_e32 v19, s18, v20
	s_waitcnt vmcnt(1)
	v_cndmask_b32_e64 v13, 0, v13, s[2:3]
	v_cndmask_b32_e64 v12, 0, v12, s[2:3]
	;; [unrolled: 1-line block ×4, first 2 shown]
	v_cmp_gt_i32_e64 s[2:3], s33, v19
	s_and_b64 s[2:3], s[2:3], s[0:1]
	s_waitcnt vmcnt(0)
	v_cndmask_b32_e64 v17, 0, v17, s[2:3]
	v_cndmask_b32_e64 v16, 0, v16, s[2:3]
	;; [unrolled: 1-line block ×4, first 2 shown]
	ds_write2st64_b32 v68, v2, v3 offset1:2
	ds_write2st64_b32 v68, v4, v5 offset0:4 offset1:6
	ds_write2st64_b32 v68, v6, v7 offset0:8 offset1:10
	ds_write2st64_b32 v68, v8, v9 offset0:12 offset1:14
	ds_write2st64_b32 v68, v10, v11 offset0:64 offset1:66
	ds_write2st64_b32 v68, v12, v13 offset0:68 offset1:70
	ds_write2st64_b32 v68, v14, v15 offset0:72 offset1:74
	ds_write2st64_b32 v68, v16, v17 offset0:76 offset1:78
	v_mul_hi_u32 v2, v1, s47
	v_add_u32_e32 v2, v1, v2
	v_lshrrev_b32_e32 v8, s46, v2
	v_mul_lo_u32 v2, v8, s45
	v_sub_u32_e32 v6, v1, v2
	v_sub_u32_e32 v3, v8, v25
	;; [unrolled: 1-line block ×3, first 2 shown]
	v_mul_lo_u32 v20, v3, s34
	v_mul_lo_u32 v3, v20, s9
	;; [unrolled: 1-line block ×3, first 2 shown]
	v_add3_u32 v9, v2, v3, v28
	v_mul_hi_u32 v3, v21, s47
	v_add_u32_e32 v7, v21, v3
	v_lshrrev_b32_e32 v10, s46, v7
	v_mad_u64_u32 v[6:7], s[2:3], v10, s45, v[6:7]
	v_sub_u32_e32 v7, v21, v6
	v_sub_u32_e32 v6, v10, v8
	v_lshlrev_b32_e32 v2, 2, v9
	v_mul_lo_u32 v22, v6, s34
	s_waitcnt lgkmcnt(0)
	s_barrier
	buffer_load_dwordx4 v[2:5], v2, s[20:23], 0 offen
	v_mul_lo_u32 v6, v22, s9
	v_mad_u64_u32 v[6:7], s[2:3], v7, s10, v[6:7]
	v_add_lshl_u32 v6, v6, v9, 2
	buffer_load_dwordx4 v[6:9], v6, s[20:23], 0 offen
	v_add_u32_e32 v14, s44, v29
	v_lshlrev_b32_e32 v10, 2, v14
	buffer_load_dwordx4 v[10:13], v10, s[28:31], 0 offen
	v_add_lshl_u32 v14, v14, s18, 2
	buffer_load_dwordx4 v[14:17], v14, s[28:31], 0 offen
	v_lshlrev_b32_e32 v25, 1, v0
	v_lshlrev_b32_e32 v24, 6, v23
	v_and_b32_e32 v26, 0x1f8, v25
	v_sub_u32_e32 v24, v26, v24
	v_lshlrev_b32_e32 v0, 2, v0
	v_and_or_b32 v64, v0, 4, v24
	v_and_b32_e32 v0, 0x1fc, v25
	v_sub_u32_e32 v0, v0, v26
	v_lshl_add_u32 v65, v23, 3, v0
	v_add_u32_e32 v0, v18, v20
	v_cmp_le_i32_e64 s[6:7], s13, v0
	v_cmp_gt_i32_e64 s[8:9], s12, v0
	v_cmp_gt_i32_e64 s[2:3], s19, v1
	s_and_b64 s[6:7], s[6:7], s[8:9]
	s_and_b64 s[2:3], s[2:3], s[6:7]
	v_add_u32_e32 v0, v0, v22
	s_and_b64 s[2:3], vcc, s[2:3]
	v_cmp_le_i32_e64 s[6:7], s13, v0
	v_cmp_gt_i32_e64 s[8:9], s12, v0
	s_and_b64 s[6:7], s[6:7], s[8:9]
	v_add_u32_e32 v18, s44, v19
	v_lshlrev_b32_e32 v66, 2, v65
	v_lshlrev_b32_e32 v67, 2, v64
	v_add_u32_e32 v0, s18, v18
	ds_read_b128 v[30:33], v66
	ds_read_b128 v[52:55], v67 offset:16384
	ds_read_b128 v[86:89], v67 offset:16640
	;; [unrolled: 1-line block ×3, first 2 shown]
	v_mov_b32_e32 v1, 0
	v_mov_b32_e32 v19, 0
	;; [unrolled: 1-line block ×10, first 2 shown]
	v_add_u32_e32 v65, s11, v65
	v_add_u32_e32 v64, s15, v64
	v_or_b32_e32 v102, 2, v65
	v_or_b32_e32 v103, 3, v65
	v_add_u32_e32 v104, 64, v65
	s_waitcnt vmcnt(3)
	v_cndmask_b32_e64 v69, 0, v5, s[2:3]
	v_cndmask_b32_e64 v70, 0, v4, s[2:3]
	;; [unrolled: 1-line block ×4, first 2 shown]
	v_cmp_gt_i32_e64 s[2:3], s19, v21
	s_and_b64 s[2:3], s[2:3], s[6:7]
	s_and_b64 vcc, vcc, s[2:3]
	s_waitcnt vmcnt(2)
	v_cndmask_b32_e32 v73, 0, v9, vcc
	v_cndmask_b32_e32 v74, 0, v8, vcc
	;; [unrolled: 1-line block ×4, first 2 shown]
	v_cmp_gt_i32_e32 vcc, s33, v18
	s_and_b64 vcc, vcc, s[0:1]
	s_waitcnt vmcnt(1)
	v_cndmask_b32_e32 v77, 0, v13, vcc
	v_cndmask_b32_e32 v78, 0, v12, vcc
	;; [unrolled: 1-line block ×4, first 2 shown]
	v_cmp_gt_i32_e32 vcc, s33, v0
	s_and_b64 vcc, vcc, s[0:1]
	s_waitcnt vmcnt(0)
	v_cndmask_b32_e32 v81, 0, v17, vcc
	v_cndmask_b32_e32 v82, 0, v16, vcc
	;; [unrolled: 1-line block ×4, first 2 shown]
	v_mov_b32_e32 v0, 0
	v_mov_b32_e32 v2, 0
	;; [unrolled: 1-line block ×19, first 2 shown]
	s_waitcnt lgkmcnt(2)
	;;#ASMSTART
	
             v_fmac_f32 v0, v30, v52 
             
	;;#ASMEND
	;;#ASMSTART
	
             v_fmac_f32 v1, v30, v53 
             
	;;#ASMEND
	;; [unrolled: 5-line block ×16, first 2 shown]
	s_waitcnt lgkmcnt(1)
	;;#ASMSTART
	
             v_fmac_f32 v4, v30, v86 
             
	;;#ASMEND
	;;#ASMSTART
	
             v_fmac_f32 v5, v30, v87 
             
	;;#ASMEND
	;; [unrolled: 5-line block ×16, first 2 shown]
	v_mov_b32_e32 v30, 0
	v_mov_b32_e32 v31, 0
	;; [unrolled: 1-line block ×4, first 2 shown]
	ds_read_b128 v[94:97], v66 offset:512
	s_waitcnt lgkmcnt(1)
	;;#ASMSTART
	
             v_fmac_f32 v46, v90, v52 
             
	;;#ASMEND
	;;#ASMSTART
	
             v_fmac_f32 v47, v90, v53 
             
	;;#ASMEND
	;; [unrolled: 5-line block ×16, first 2 shown]
	v_mov_b32_e32 v52, 0
	v_mov_b32_e32 v53, 0
	;; [unrolled: 1-line block ×4, first 2 shown]
	ds_read_b128 v[98:101], v67 offset:16896
	;;#ASMSTART
	
             v_fmac_f32 v56, v90, v86 
             
	;;#ASMEND
	;;#ASMSTART
	
             v_fmac_f32 v57, v90, v87 
             
	;;#ASMEND
	;; [unrolled: 5-line block ×16, first 2 shown]
	ds_read_b128 v[86:89], v67 offset:17152
	ds_read_b128 v[90:93], v66 offset:768
	s_waitcnt lgkmcnt(2)
	;;#ASMSTART
	
             v_fmac_f32 v0, v94, v98 
             
	;;#ASMEND
	;;#ASMSTART
	
             v_fmac_f32 v1, v94, v99 
             
	;;#ASMEND
	;; [unrolled: 5-line block ×16, first 2 shown]
	s_waitcnt lgkmcnt(1)
	;;#ASMSTART
	
             v_fmac_f32 v4, v94, v86 
             
	;;#ASMEND
	;;#ASMSTART
	
             v_fmac_f32 v5, v94, v87 
             
	;;#ASMEND
	;; [unrolled: 5-line block ×16, first 2 shown]
	ds_read_b128 v[94:97], v66 offset:1024
	s_waitcnt lgkmcnt(1)
	;;#ASMSTART
	
             v_fmac_f32 v46, v90, v98 
             
	;;#ASMEND
	;;#ASMSTART
	
             v_fmac_f32 v47, v90, v99 
             
	;;#ASMEND
	;; [unrolled: 5-line block ×16, first 2 shown]
	ds_read_b128 v[98:101], v67 offset:17408
	;;#ASMSTART
	
             v_fmac_f32 v56, v90, v86 
             
	;;#ASMEND
	;;#ASMSTART
	
             v_fmac_f32 v57, v90, v87 
             
	;;#ASMEND
	;; [unrolled: 5-line block ×16, first 2 shown]
	ds_read_b128 v[86:89], v67 offset:17664
	ds_read_b128 v[90:93], v66 offset:1280
	s_waitcnt lgkmcnt(2)
	;;#ASMSTART
	
             v_fmac_f32 v0, v94, v98 
             
	;;#ASMEND
	;;#ASMSTART
	
             v_fmac_f32 v1, v94, v99 
             
	;;#ASMEND
	;; [unrolled: 5-line block ×16, first 2 shown]
	s_waitcnt lgkmcnt(1)
	;;#ASMSTART
	
             v_fmac_f32 v4, v94, v86 
             
	;;#ASMEND
	;;#ASMSTART
	
             v_fmac_f32 v5, v94, v87 
             
	;;#ASMEND
	;; [unrolled: 5-line block ×16, first 2 shown]
	ds_read_b128 v[94:97], v66 offset:1536
	s_waitcnt lgkmcnt(1)
	;;#ASMSTART
	
             v_fmac_f32 v46, v90, v98 
             
	;;#ASMEND
	;;#ASMSTART
	
             v_fmac_f32 v47, v90, v99 
             
	;;#ASMEND
	;;#ASMSTART
	
             v_fmac_f32 v50, v90, v100 
             
	;;#ASMEND
	;;#ASMSTART
	
             v_fmac_f32 v51, v90, v101 
             
	;;#ASMEND
	;;#ASMSTART
	
             v_fmac_f32 v40, v91, v98 
             
	;;#ASMEND
	;;#ASMSTART
	
             v_fmac_f32 v41, v91, v99 
             
	;;#ASMEND
	;;#ASMSTART
	
             v_fmac_f32 v42, v91, v100 
             
	;;#ASMEND
	;;#ASMSTART
	
             v_fmac_f32 v43, v91, v101 
             
	;;#ASMEND
	;;#ASMSTART
	
             v_fmac_f32 v34, v92, v98 
             
	;;#ASMEND
	;;#ASMSTART
	
             v_fmac_f32 v35, v92, v99 
             
	;;#ASMEND
	;;#ASMSTART
	
             v_fmac_f32 v36, v92, v100 
             
	;;#ASMEND
	;;#ASMSTART
	
             v_fmac_f32 v37, v92, v101 
             
	;;#ASMEND
	;;#ASMSTART
	
             v_fmac_f32 v30, v93, v98 
             
	;;#ASMEND
	;;#ASMSTART
	
             v_fmac_f32 v31, v93, v99 
             
	;;#ASMEND
	;;#ASMSTART
	
             v_fmac_f32 v32, v93, v100 
             
	;;#ASMEND
	;;#ASMSTART
	
             v_fmac_f32 v33, v93, v101 
             
	;;#ASMEND
	ds_read_b128 v[98:101], v67 offset:17920
	;;#ASMSTART
	
             v_fmac_f32 v56, v90, v86 
             
	;;#ASMEND
	;;#ASMSTART
	
             v_fmac_f32 v57, v90, v87 
             
	;;#ASMEND
	;; [unrolled: 5-line block ×16, first 2 shown]
	ds_read_b128 v[86:89], v67 offset:18176
	ds_read_b128 v[90:93], v66 offset:1792
	s_waitcnt lgkmcnt(2)
	;;#ASMSTART
	
             v_fmac_f32 v0, v94, v98 
             
	;;#ASMEND
	;;#ASMSTART
	
             v_fmac_f32 v1, v94, v99 
             
	;;#ASMEND
	;; [unrolled: 5-line block ×16, first 2 shown]
	s_waitcnt lgkmcnt(1)
	;;#ASMSTART
	
             v_fmac_f32 v4, v94, v86 
             
	;;#ASMEND
	;;#ASMSTART
	
             v_fmac_f32 v5, v94, v87 
             
	;;#ASMEND
	;; [unrolled: 5-line block ×16, first 2 shown]
	ds_read_b128 v[94:97], v66 offset:2048
	s_waitcnt lgkmcnt(1)
	;;#ASMSTART
	
             v_fmac_f32 v46, v90, v98 
             
	;;#ASMEND
	;;#ASMSTART
	
             v_fmac_f32 v47, v90, v99 
             
	;;#ASMEND
	;; [unrolled: 5-line block ×16, first 2 shown]
	ds_read_b128 v[98:101], v67 offset:18432
	;;#ASMSTART
	
             v_fmac_f32 v56, v90, v86 
             
	;;#ASMEND
	;;#ASMSTART
	
             v_fmac_f32 v57, v90, v87 
             
	;;#ASMEND
	;; [unrolled: 5-line block ×16, first 2 shown]
	ds_read_b128 v[86:89], v67 offset:18688
	ds_read_b128 v[90:93], v66 offset:2304
	s_waitcnt lgkmcnt(2)
	;;#ASMSTART
	
             v_fmac_f32 v0, v94, v98 
             
	;;#ASMEND
	;;#ASMSTART
	
             v_fmac_f32 v1, v94, v99 
             
	;;#ASMEND
	;; [unrolled: 5-line block ×16, first 2 shown]
	s_waitcnt lgkmcnt(1)
	;;#ASMSTART
	
             v_fmac_f32 v4, v94, v86 
             
	;;#ASMEND
	;;#ASMSTART
	
             v_fmac_f32 v5, v94, v87 
             
	;;#ASMEND
	;; [unrolled: 5-line block ×16, first 2 shown]
	ds_read_b128 v[94:97], v66 offset:2560
	s_waitcnt lgkmcnt(1)
	;;#ASMSTART
	
             v_fmac_f32 v46, v90, v98 
             
	;;#ASMEND
	;;#ASMSTART
	
             v_fmac_f32 v47, v90, v99 
             
	;;#ASMEND
	;; [unrolled: 5-line block ×16, first 2 shown]
	ds_read_b128 v[98:101], v67 offset:18944
	;;#ASMSTART
	
             v_fmac_f32 v56, v90, v86 
             
	;;#ASMEND
	;;#ASMSTART
	
             v_fmac_f32 v57, v90, v87 
             
	;;#ASMEND
	;; [unrolled: 5-line block ×16, first 2 shown]
	ds_read_b128 v[86:89], v67 offset:19200
	ds_read_b128 v[90:93], v66 offset:2816
	s_waitcnt lgkmcnt(2)
	;;#ASMSTART
	
             v_fmac_f32 v0, v94, v98 
             
	;;#ASMEND
	;;#ASMSTART
	
             v_fmac_f32 v1, v94, v99 
             
	;;#ASMEND
	;; [unrolled: 5-line block ×16, first 2 shown]
	s_waitcnt lgkmcnt(1)
	;;#ASMSTART
	
             v_fmac_f32 v4, v94, v86 
             
	;;#ASMEND
	;;#ASMSTART
	
             v_fmac_f32 v5, v94, v87 
             
	;;#ASMEND
	;; [unrolled: 5-line block ×16, first 2 shown]
	ds_read_b128 v[94:97], v66 offset:3072
	s_waitcnt lgkmcnt(1)
	;;#ASMSTART
	
             v_fmac_f32 v46, v90, v98 
             
	;;#ASMEND
	;;#ASMSTART
	
             v_fmac_f32 v47, v90, v99 
             
	;;#ASMEND
	;;#ASMSTART
	
             v_fmac_f32 v50, v90, v100 
             
	;;#ASMEND
	;;#ASMSTART
	
             v_fmac_f32 v51, v90, v101 
             
	;;#ASMEND
	;;#ASMSTART
	
             v_fmac_f32 v40, v91, v98 
             
	;;#ASMEND
	;;#ASMSTART
	
             v_fmac_f32 v41, v91, v99 
             
	;;#ASMEND
	;;#ASMSTART
	
             v_fmac_f32 v42, v91, v100 
             
	;;#ASMEND
	;;#ASMSTART
	
             v_fmac_f32 v43, v91, v101 
             
	;;#ASMEND
	;;#ASMSTART
	
             v_fmac_f32 v34, v92, v98 
             
	;;#ASMEND
	;;#ASMSTART
	
             v_fmac_f32 v35, v92, v99 
             
	;;#ASMEND
	;;#ASMSTART
	
             v_fmac_f32 v36, v92, v100 
             
	;;#ASMEND
	;;#ASMSTART
	
             v_fmac_f32 v37, v92, v101 
             
	;;#ASMEND
	;;#ASMSTART
	
             v_fmac_f32 v30, v93, v98 
             
	;;#ASMEND
	;;#ASMSTART
	
             v_fmac_f32 v31, v93, v99 
             
	;;#ASMEND
	;;#ASMSTART
	
             v_fmac_f32 v32, v93, v100 
             
	;;#ASMEND
	;;#ASMSTART
	
             v_fmac_f32 v33, v93, v101 
             
	;;#ASMEND
	ds_read_b128 v[98:101], v67 offset:19456
	;;#ASMSTART
	
             v_fmac_f32 v56, v90, v86 
             
	;;#ASMEND
	;;#ASMSTART
	
             v_fmac_f32 v57, v90, v87 
             
	;;#ASMEND
	;; [unrolled: 5-line block ×16, first 2 shown]
	ds_read_b128 v[86:89], v67 offset:19712
	ds_read_b128 v[90:93], v66 offset:3328
	s_waitcnt lgkmcnt(2)
	;;#ASMSTART
	
             v_fmac_f32 v0, v94, v98 
             
	;;#ASMEND
	;;#ASMSTART
	
             v_fmac_f32 v1, v94, v99 
             
	;;#ASMEND
	;; [unrolled: 5-line block ×16, first 2 shown]
	s_waitcnt lgkmcnt(1)
	;;#ASMSTART
	
             v_fmac_f32 v4, v94, v86 
             
	;;#ASMEND
	;;#ASMSTART
	
             v_fmac_f32 v5, v94, v87 
             
	;;#ASMEND
	;; [unrolled: 5-line block ×16, first 2 shown]
	ds_read_b128 v[94:97], v66 offset:3584
	s_waitcnt lgkmcnt(1)
	;;#ASMSTART
	
             v_fmac_f32 v46, v90, v98 
             
	;;#ASMEND
	;;#ASMSTART
	
             v_fmac_f32 v47, v90, v99 
             
	;;#ASMEND
	;; [unrolled: 5-line block ×16, first 2 shown]
	ds_read_b128 v[98:101], v67 offset:19968
	;;#ASMSTART
	
             v_fmac_f32 v56, v90, v86 
             
	;;#ASMEND
	;;#ASMSTART
	
             v_fmac_f32 v57, v90, v87 
             
	;;#ASMEND
	;; [unrolled: 5-line block ×16, first 2 shown]
	ds_read_b128 v[86:89], v67 offset:20224
	ds_read_b128 v[90:93], v66 offset:3840
	s_waitcnt lgkmcnt(2)
	;;#ASMSTART
	
             v_fmac_f32 v0, v94, v98 
             
	;;#ASMEND
	;;#ASMSTART
	
             v_fmac_f32 v1, v94, v99 
             
	;;#ASMEND
	;; [unrolled: 5-line block ×16, first 2 shown]
	s_waitcnt lgkmcnt(1)
	;;#ASMSTART
	
             v_fmac_f32 v4, v94, v86 
             
	;;#ASMEND
	;;#ASMSTART
	
             v_fmac_f32 v5, v94, v87 
             
	;;#ASMEND
	;; [unrolled: 5-line block ×16, first 2 shown]
	ds_read_b128 v[94:97], v66 offset:4096
	s_waitcnt lgkmcnt(1)
	;;#ASMSTART
	
             v_fmac_f32 v46, v90, v98 
             
	;;#ASMEND
	;;#ASMSTART
	
             v_fmac_f32 v47, v90, v99 
             
	;;#ASMEND
	;;#ASMSTART
	
             v_fmac_f32 v50, v90, v100 
             
	;;#ASMEND
	;;#ASMSTART
	
             v_fmac_f32 v51, v90, v101 
             
	;;#ASMEND
	;;#ASMSTART
	
             v_fmac_f32 v40, v91, v98 
             
	;;#ASMEND
	;;#ASMSTART
	
             v_fmac_f32 v41, v91, v99 
             
	;;#ASMEND
	;;#ASMSTART
	
             v_fmac_f32 v42, v91, v100 
             
	;;#ASMEND
	;;#ASMSTART
	
             v_fmac_f32 v43, v91, v101 
             
	;;#ASMEND
	;;#ASMSTART
	
             v_fmac_f32 v34, v92, v98 
             
	;;#ASMEND
	;;#ASMSTART
	
             v_fmac_f32 v35, v92, v99 
             
	;;#ASMEND
	;;#ASMSTART
	
             v_fmac_f32 v36, v92, v100 
             
	;;#ASMEND
	;;#ASMSTART
	
             v_fmac_f32 v37, v92, v101 
             
	;;#ASMEND
	;;#ASMSTART
	
             v_fmac_f32 v30, v93, v98 
             
	;;#ASMEND
	;;#ASMSTART
	
             v_fmac_f32 v31, v93, v99 
             
	;;#ASMEND
	;;#ASMSTART
	
             v_fmac_f32 v32, v93, v100 
             
	;;#ASMEND
	;;#ASMSTART
	
             v_fmac_f32 v33, v93, v101 
             
	;;#ASMEND
	ds_read_b128 v[98:101], v67 offset:20480
	;;#ASMSTART
	
             v_fmac_f32 v56, v90, v86 
             
	;;#ASMEND
	;;#ASMSTART
	
             v_fmac_f32 v57, v90, v87 
             
	;;#ASMEND
	;; [unrolled: 5-line block ×16, first 2 shown]
	ds_read_b128 v[86:89], v67 offset:20736
	ds_read_b128 v[90:93], v66 offset:4352
	s_waitcnt lgkmcnt(2)
	;;#ASMSTART
	
             v_fmac_f32 v0, v94, v98 
             
	;;#ASMEND
	;;#ASMSTART
	
             v_fmac_f32 v1, v94, v99 
             
	;;#ASMEND
	;; [unrolled: 5-line block ×16, first 2 shown]
	s_waitcnt lgkmcnt(1)
	;;#ASMSTART
	
             v_fmac_f32 v4, v94, v86 
             
	;;#ASMEND
	;;#ASMSTART
	
             v_fmac_f32 v5, v94, v87 
             
	;;#ASMEND
	;; [unrolled: 5-line block ×16, first 2 shown]
	ds_read_b128 v[94:97], v66 offset:4608
	s_waitcnt lgkmcnt(1)
	;;#ASMSTART
	
             v_fmac_f32 v46, v90, v98 
             
	;;#ASMEND
	;;#ASMSTART
	
             v_fmac_f32 v47, v90, v99 
             
	;;#ASMEND
	;; [unrolled: 5-line block ×16, first 2 shown]
	ds_read_b128 v[98:101], v67 offset:20992
	;;#ASMSTART
	
             v_fmac_f32 v56, v90, v86 
             
	;;#ASMEND
	;;#ASMSTART
	
             v_fmac_f32 v57, v90, v87 
             
	;;#ASMEND
	;; [unrolled: 5-line block ×16, first 2 shown]
	ds_read_b128 v[86:89], v67 offset:21248
	ds_read_b128 v[90:93], v66 offset:4864
	s_waitcnt lgkmcnt(2)
	;;#ASMSTART
	
             v_fmac_f32 v0, v94, v98 
             
	;;#ASMEND
	;;#ASMSTART
	
             v_fmac_f32 v1, v94, v99 
             
	;;#ASMEND
	;; [unrolled: 5-line block ×16, first 2 shown]
	s_waitcnt lgkmcnt(1)
	;;#ASMSTART
	
             v_fmac_f32 v4, v94, v86 
             
	;;#ASMEND
	;;#ASMSTART
	
             v_fmac_f32 v5, v94, v87 
             
	;;#ASMEND
	;; [unrolled: 5-line block ×16, first 2 shown]
	ds_read_b128 v[94:97], v66 offset:5120
	s_waitcnt lgkmcnt(1)
	;;#ASMSTART
	
             v_fmac_f32 v46, v90, v98 
             
	;;#ASMEND
	;;#ASMSTART
	
             v_fmac_f32 v47, v90, v99 
             
	;;#ASMEND
	;; [unrolled: 5-line block ×16, first 2 shown]
	ds_read_b128 v[98:101], v67 offset:21504
	;;#ASMSTART
	
             v_fmac_f32 v56, v90, v86 
             
	;;#ASMEND
	;;#ASMSTART
	
             v_fmac_f32 v57, v90, v87 
             
	;;#ASMEND
	;; [unrolled: 5-line block ×16, first 2 shown]
	ds_read_b128 v[86:89], v67 offset:21760
	ds_read_b128 v[90:93], v66 offset:5376
	s_waitcnt lgkmcnt(2)
	;;#ASMSTART
	
             v_fmac_f32 v0, v94, v98 
             
	;;#ASMEND
	;;#ASMSTART
	
             v_fmac_f32 v1, v94, v99 
             
	;;#ASMEND
	;; [unrolled: 5-line block ×16, first 2 shown]
	s_waitcnt lgkmcnt(1)
	;;#ASMSTART
	
             v_fmac_f32 v4, v94, v86 
             
	;;#ASMEND
	;;#ASMSTART
	
             v_fmac_f32 v5, v94, v87 
             
	;;#ASMEND
	;; [unrolled: 5-line block ×16, first 2 shown]
	ds_read_b128 v[94:97], v66 offset:5632
	s_waitcnt lgkmcnt(1)
	;;#ASMSTART
	
             v_fmac_f32 v46, v90, v98 
             
	;;#ASMEND
	;;#ASMSTART
	
             v_fmac_f32 v47, v90, v99 
             
	;;#ASMEND
	;; [unrolled: 5-line block ×16, first 2 shown]
	ds_read_b128 v[98:101], v67 offset:22016
	;;#ASMSTART
	
             v_fmac_f32 v56, v90, v86 
             
	;;#ASMEND
	;;#ASMSTART
	
             v_fmac_f32 v57, v90, v87 
             
	;;#ASMEND
	;; [unrolled: 5-line block ×16, first 2 shown]
	ds_read_b128 v[86:89], v67 offset:22272
	ds_read_b128 v[90:93], v66 offset:5888
	s_waitcnt lgkmcnt(2)
	;;#ASMSTART
	
             v_fmac_f32 v0, v94, v98 
             
	;;#ASMEND
	;;#ASMSTART
	
             v_fmac_f32 v1, v94, v99 
             
	;;#ASMEND
	;; [unrolled: 5-line block ×16, first 2 shown]
	s_waitcnt lgkmcnt(1)
	;;#ASMSTART
	
             v_fmac_f32 v4, v94, v86 
             
	;;#ASMEND
	;;#ASMSTART
	
             v_fmac_f32 v5, v94, v87 
             
	;;#ASMEND
	;; [unrolled: 5-line block ×16, first 2 shown]
	ds_read_b128 v[94:97], v66 offset:6144
	s_waitcnt lgkmcnt(1)
	;;#ASMSTART
	
             v_fmac_f32 v46, v90, v98 
             
	;;#ASMEND
	;;#ASMSTART
	
             v_fmac_f32 v47, v90, v99 
             
	;;#ASMEND
	;; [unrolled: 5-line block ×16, first 2 shown]
	ds_read_b128 v[98:101], v67 offset:22528
	;;#ASMSTART
	
             v_fmac_f32 v56, v90, v86 
             
	;;#ASMEND
	;;#ASMSTART
	
             v_fmac_f32 v57, v90, v87 
             
	;;#ASMEND
	;;#ASMSTART
	
             v_fmac_f32 v58, v90, v88 
             
	;;#ASMEND
	;;#ASMSTART
	
             v_fmac_f32 v59, v90, v89 
             
	;;#ASMEND
	;;#ASMSTART
	
             v_fmac_f32 v52, v91, v86 
             
	;;#ASMEND
	;;#ASMSTART
	
             v_fmac_f32 v53, v91, v87 
             
	;;#ASMEND
	;;#ASMSTART
	
             v_fmac_f32 v54, v91, v88 
             
	;;#ASMEND
	;;#ASMSTART
	
             v_fmac_f32 v55, v91, v89 
             
	;;#ASMEND
	;;#ASMSTART
	
             v_fmac_f32 v44, v92, v86 
             
	;;#ASMEND
	;;#ASMSTART
	
             v_fmac_f32 v45, v92, v87 
             
	;;#ASMEND
	;;#ASMSTART
	
             v_fmac_f32 v48, v92, v88 
             
	;;#ASMEND
	;;#ASMSTART
	
             v_fmac_f32 v49, v92, v89 
             
	;;#ASMEND
	;;#ASMSTART
	
             v_fmac_f32 v38, v93, v86 
             
	;;#ASMEND
	;;#ASMSTART
	
             v_fmac_f32 v39, v93, v87 
             
	;;#ASMEND
	;;#ASMSTART
	
             v_fmac_f32 v28, v93, v88 
             
	;;#ASMEND
	;;#ASMSTART
	
             v_fmac_f32 v29, v93, v89 
             
	;;#ASMEND
	ds_read_b128 v[86:89], v67 offset:22784
	ds_read_b128 v[90:93], v66 offset:6400
	s_waitcnt lgkmcnt(2)
	;;#ASMSTART
	
             v_fmac_f32 v0, v94, v98 
             
	;;#ASMEND
	;;#ASMSTART
	
             v_fmac_f32 v1, v94, v99 
             
	;;#ASMEND
	;; [unrolled: 5-line block ×16, first 2 shown]
	s_waitcnt lgkmcnt(1)
	;;#ASMSTART
	
             v_fmac_f32 v4, v94, v86 
             
	;;#ASMEND
	;;#ASMSTART
	
             v_fmac_f32 v5, v94, v87 
             
	;;#ASMEND
	;; [unrolled: 5-line block ×16, first 2 shown]
	ds_read_b128 v[94:97], v66 offset:6656
	s_waitcnt lgkmcnt(1)
	;;#ASMSTART
	
             v_fmac_f32 v46, v90, v98 
             
	;;#ASMEND
	;;#ASMSTART
	
             v_fmac_f32 v47, v90, v99 
             
	;;#ASMEND
	;; [unrolled: 5-line block ×16, first 2 shown]
	ds_read_b128 v[98:101], v67 offset:23040
	;;#ASMSTART
	
             v_fmac_f32 v56, v90, v86 
             
	;;#ASMEND
	;;#ASMSTART
	
             v_fmac_f32 v57, v90, v87 
             
	;;#ASMEND
	;; [unrolled: 5-line block ×16, first 2 shown]
	ds_read_b128 v[86:89], v67 offset:23296
	ds_read_b128 v[90:93], v66 offset:6912
	s_waitcnt lgkmcnt(2)
	;;#ASMSTART
	
             v_fmac_f32 v0, v94, v98 
             
	;;#ASMEND
	;;#ASMSTART
	
             v_fmac_f32 v1, v94, v99 
             
	;;#ASMEND
	;; [unrolled: 5-line block ×16, first 2 shown]
	s_waitcnt lgkmcnt(1)
	;;#ASMSTART
	
             v_fmac_f32 v4, v94, v86 
             
	;;#ASMEND
	;;#ASMSTART
	
             v_fmac_f32 v5, v94, v87 
             
	;;#ASMEND
	;; [unrolled: 5-line block ×16, first 2 shown]
	ds_read_b128 v[94:97], v66 offset:7168
	s_waitcnt lgkmcnt(1)
	;;#ASMSTART
	
             v_fmac_f32 v46, v90, v98 
             
	;;#ASMEND
	;;#ASMSTART
	
             v_fmac_f32 v47, v90, v99 
             
	;;#ASMEND
	;; [unrolled: 5-line block ×16, first 2 shown]
	ds_read_b128 v[98:101], v67 offset:23552
	;;#ASMSTART
	
             v_fmac_f32 v56, v90, v86 
             
	;;#ASMEND
	;;#ASMSTART
	
             v_fmac_f32 v57, v90, v87 
             
	;;#ASMEND
	;; [unrolled: 5-line block ×16, first 2 shown]
	ds_read_b128 v[86:89], v67 offset:23808
	ds_read_b128 v[90:93], v66 offset:7424
	s_waitcnt lgkmcnt(2)
	;;#ASMSTART
	
             v_fmac_f32 v0, v94, v98 
             
	;;#ASMEND
	;;#ASMSTART
	
             v_fmac_f32 v1, v94, v99 
             
	;;#ASMEND
	;; [unrolled: 5-line block ×16, first 2 shown]
	s_waitcnt lgkmcnt(1)
	;;#ASMSTART
	
             v_fmac_f32 v4, v94, v86 
             
	;;#ASMEND
	;;#ASMSTART
	
             v_fmac_f32 v5, v94, v87 
             
	;;#ASMEND
	;; [unrolled: 5-line block ×16, first 2 shown]
	ds_read_b128 v[94:97], v66 offset:7680
	s_waitcnt lgkmcnt(1)
	;;#ASMSTART
	
             v_fmac_f32 v46, v90, v98 
             
	;;#ASMEND
	;;#ASMSTART
	
             v_fmac_f32 v47, v90, v99 
             
	;;#ASMEND
	;; [unrolled: 5-line block ×16, first 2 shown]
	ds_read_b128 v[98:101], v67 offset:24064
	;;#ASMSTART
	
             v_fmac_f32 v56, v90, v86 
             
	;;#ASMEND
	;;#ASMSTART
	
             v_fmac_f32 v57, v90, v87 
             
	;;#ASMEND
	;; [unrolled: 5-line block ×16, first 2 shown]
	ds_read_b128 v[86:89], v67 offset:24320
	ds_read_b128 v[90:93], v66 offset:7936
	s_waitcnt lgkmcnt(2)
	;;#ASMSTART
	
             v_fmac_f32 v0, v94, v98 
             
	;;#ASMEND
	;;#ASMSTART
	
             v_fmac_f32 v1, v94, v99 
             
	;;#ASMEND
	;; [unrolled: 5-line block ×16, first 2 shown]
	s_waitcnt lgkmcnt(1)
	;;#ASMSTART
	
             v_fmac_f32 v4, v94, v86 
             
	;;#ASMEND
	;;#ASMSTART
	
             v_fmac_f32 v5, v94, v87 
             
	;;#ASMEND
	;; [unrolled: 5-line block ×16, first 2 shown]
	s_waitcnt lgkmcnt(0)
	;;#ASMSTART
	
             v_fmac_f32 v46, v90, v98 
             
	;;#ASMEND
	;;#ASMSTART
	
             v_fmac_f32 v47, v90, v99 
             
	;;#ASMEND
	;; [unrolled: 5-line block ×32, first 2 shown]
	ds_write2st64_b32 v68, v72, v71 offset0:32 offset1:34
	ds_write2st64_b32 v68, v70, v69 offset0:36 offset1:38
	;; [unrolled: 1-line block ×8, first 2 shown]
	s_waitcnt lgkmcnt(0)
	s_barrier
	ds_read_b128 v[68:71], v66 offset:8192
	ds_read_b128 v[72:75], v67 offset:24576
	s_load_dwordx2 s[6:7], s[4:5], 0x158
	s_load_dword s10, s[4:5], 0x164
	s_load_dword s12, s[4:5], 0x170
	;; [unrolled: 1-line block ×3, first 2 shown]
	ds_read_b128 v[76:79], v67 offset:24832
	ds_read_b128 v[80:83], v66 offset:8448
	s_waitcnt lgkmcnt(0)
	;;#ASMSTART
	
             v_fmac_f32 v0, v68, v72 
             
	;;#ASMEND
	;;#ASMSTART
	
             v_fmac_f32 v1, v68, v73 
             
	;;#ASMEND
	;; [unrolled: 5-line block ×32, first 2 shown]
	ds_read_b128 v[68:71], v66 offset:8704
	;;#ASMSTART
	
             v_fmac_f32 v46, v80, v72 
             
	;;#ASMEND
	;;#ASMSTART
	
             v_fmac_f32 v47, v80, v73 
             
	;;#ASMEND
	;; [unrolled: 5-line block ×16, first 2 shown]
	ds_read_b128 v[72:75], v67 offset:25088
	;;#ASMSTART
	
             v_fmac_f32 v56, v80, v76 
             
	;;#ASMEND
	;;#ASMSTART
	
             v_fmac_f32 v57, v80, v77 
             
	;;#ASMEND
	;; [unrolled: 5-line block ×16, first 2 shown]
	ds_read_b128 v[76:79], v67 offset:25344
	ds_read_b128 v[80:83], v66 offset:8960
	s_waitcnt lgkmcnt(2)
	;;#ASMSTART
	
             v_fmac_f32 v0, v68, v72 
             
	;;#ASMEND
	;;#ASMSTART
	
             v_fmac_f32 v1, v68, v73 
             
	;;#ASMEND
	;; [unrolled: 5-line block ×16, first 2 shown]
	s_waitcnt lgkmcnt(1)
	;;#ASMSTART
	
             v_fmac_f32 v4, v68, v76 
             
	;;#ASMEND
	;;#ASMSTART
	
             v_fmac_f32 v5, v68, v77 
             
	;;#ASMEND
	;; [unrolled: 5-line block ×16, first 2 shown]
	ds_read_b128 v[68:71], v66 offset:9216
	s_waitcnt lgkmcnt(1)
	;;#ASMSTART
	
             v_fmac_f32 v46, v80, v72 
             
	;;#ASMEND
	;;#ASMSTART
	
             v_fmac_f32 v47, v80, v73 
             
	;;#ASMEND
	;; [unrolled: 5-line block ×16, first 2 shown]
	ds_read_b128 v[72:75], v67 offset:25600
	;;#ASMSTART
	
             v_fmac_f32 v56, v80, v76 
             
	;;#ASMEND
	;;#ASMSTART
	
             v_fmac_f32 v57, v80, v77 
             
	;;#ASMEND
	;; [unrolled: 5-line block ×16, first 2 shown]
	ds_read_b128 v[76:79], v67 offset:25856
	ds_read_b128 v[80:83], v66 offset:9472
	s_waitcnt lgkmcnt(2)
	;;#ASMSTART
	
             v_fmac_f32 v0, v68, v72 
             
	;;#ASMEND
	;;#ASMSTART
	
             v_fmac_f32 v1, v68, v73 
             
	;;#ASMEND
	;; [unrolled: 5-line block ×16, first 2 shown]
	s_waitcnt lgkmcnt(1)
	;;#ASMSTART
	
             v_fmac_f32 v4, v68, v76 
             
	;;#ASMEND
	;;#ASMSTART
	
             v_fmac_f32 v5, v68, v77 
             
	;;#ASMEND
	;; [unrolled: 5-line block ×16, first 2 shown]
	ds_read_b128 v[68:71], v66 offset:9728
	s_waitcnt lgkmcnt(1)
	;;#ASMSTART
	
             v_fmac_f32 v46, v80, v72 
             
	;;#ASMEND
	;;#ASMSTART
	
             v_fmac_f32 v47, v80, v73 
             
	;;#ASMEND
	;; [unrolled: 5-line block ×16, first 2 shown]
	ds_read_b128 v[72:75], v67 offset:26112
	;;#ASMSTART
	
             v_fmac_f32 v56, v80, v76 
             
	;;#ASMEND
	;;#ASMSTART
	
             v_fmac_f32 v57, v80, v77 
             
	;;#ASMEND
	;; [unrolled: 5-line block ×16, first 2 shown]
	ds_read_b128 v[76:79], v67 offset:26368
	ds_read_b128 v[80:83], v66 offset:9984
	s_waitcnt lgkmcnt(2)
	;;#ASMSTART
	
             v_fmac_f32 v0, v68, v72 
             
	;;#ASMEND
	;;#ASMSTART
	
             v_fmac_f32 v1, v68, v73 
             
	;;#ASMEND
	;; [unrolled: 5-line block ×16, first 2 shown]
	s_waitcnt lgkmcnt(1)
	;;#ASMSTART
	
             v_fmac_f32 v4, v68, v76 
             
	;;#ASMEND
	;;#ASMSTART
	
             v_fmac_f32 v5, v68, v77 
             
	;;#ASMEND
	;; [unrolled: 5-line block ×16, first 2 shown]
	ds_read_b128 v[68:71], v66 offset:10240
	s_waitcnt lgkmcnt(1)
	;;#ASMSTART
	
             v_fmac_f32 v46, v80, v72 
             
	;;#ASMEND
	;;#ASMSTART
	
             v_fmac_f32 v47, v80, v73 
             
	;;#ASMEND
	;; [unrolled: 5-line block ×16, first 2 shown]
	ds_read_b128 v[72:75], v67 offset:26624
	;;#ASMSTART
	
             v_fmac_f32 v56, v80, v76 
             
	;;#ASMEND
	;;#ASMSTART
	
             v_fmac_f32 v57, v80, v77 
             
	;;#ASMEND
	;; [unrolled: 5-line block ×16, first 2 shown]
	ds_read_b128 v[76:79], v67 offset:26880
	ds_read_b128 v[80:83], v66 offset:10496
	s_waitcnt lgkmcnt(2)
	;;#ASMSTART
	
             v_fmac_f32 v0, v68, v72 
             
	;;#ASMEND
	;;#ASMSTART
	
             v_fmac_f32 v1, v68, v73 
             
	;;#ASMEND
	;; [unrolled: 5-line block ×16, first 2 shown]
	s_waitcnt lgkmcnt(1)
	;;#ASMSTART
	
             v_fmac_f32 v4, v68, v76 
             
	;;#ASMEND
	;;#ASMSTART
	
             v_fmac_f32 v5, v68, v77 
             
	;;#ASMEND
	;; [unrolled: 5-line block ×16, first 2 shown]
	ds_read_b128 v[68:71], v66 offset:10752
	s_waitcnt lgkmcnt(1)
	;;#ASMSTART
	
             v_fmac_f32 v46, v80, v72 
             
	;;#ASMEND
	;;#ASMSTART
	
             v_fmac_f32 v47, v80, v73 
             
	;;#ASMEND
	;; [unrolled: 5-line block ×16, first 2 shown]
	ds_read_b128 v[72:75], v67 offset:27136
	;;#ASMSTART
	
             v_fmac_f32 v56, v80, v76 
             
	;;#ASMEND
	;;#ASMSTART
	
             v_fmac_f32 v57, v80, v77 
             
	;;#ASMEND
	;; [unrolled: 5-line block ×16, first 2 shown]
	ds_read_b128 v[76:79], v67 offset:27392
	ds_read_b128 v[80:83], v66 offset:11008
	s_waitcnt lgkmcnt(2)
	;;#ASMSTART
	
             v_fmac_f32 v0, v68, v72 
             
	;;#ASMEND
	;;#ASMSTART
	
             v_fmac_f32 v1, v68, v73 
             
	;;#ASMEND
	;; [unrolled: 5-line block ×16, first 2 shown]
	s_waitcnt lgkmcnt(1)
	;;#ASMSTART
	
             v_fmac_f32 v4, v68, v76 
             
	;;#ASMEND
	;;#ASMSTART
	
             v_fmac_f32 v5, v68, v77 
             
	;;#ASMEND
	;; [unrolled: 5-line block ×16, first 2 shown]
	ds_read_b128 v[68:71], v66 offset:11264
	s_waitcnt lgkmcnt(1)
	;;#ASMSTART
	
             v_fmac_f32 v46, v80, v72 
             
	;;#ASMEND
	;;#ASMSTART
	
             v_fmac_f32 v47, v80, v73 
             
	;;#ASMEND
	;; [unrolled: 5-line block ×16, first 2 shown]
	ds_read_b128 v[72:75], v67 offset:27648
	;;#ASMSTART
	
             v_fmac_f32 v56, v80, v76 
             
	;;#ASMEND
	;;#ASMSTART
	
             v_fmac_f32 v57, v80, v77 
             
	;;#ASMEND
	;; [unrolled: 5-line block ×16, first 2 shown]
	ds_read_b128 v[76:79], v67 offset:27904
	ds_read_b128 v[80:83], v66 offset:11520
	s_waitcnt lgkmcnt(2)
	;;#ASMSTART
	
             v_fmac_f32 v0, v68, v72 
             
	;;#ASMEND
	;;#ASMSTART
	
             v_fmac_f32 v1, v68, v73 
             
	;;#ASMEND
	;; [unrolled: 5-line block ×16, first 2 shown]
	s_waitcnt lgkmcnt(1)
	;;#ASMSTART
	
             v_fmac_f32 v4, v68, v76 
             
	;;#ASMEND
	;;#ASMSTART
	
             v_fmac_f32 v5, v68, v77 
             
	;;#ASMEND
	;; [unrolled: 5-line block ×16, first 2 shown]
	ds_read_b128 v[68:71], v66 offset:11776
	s_waitcnt lgkmcnt(1)
	;;#ASMSTART
	
             v_fmac_f32 v46, v80, v72 
             
	;;#ASMEND
	;;#ASMSTART
	
             v_fmac_f32 v47, v80, v73 
             
	;;#ASMEND
	;; [unrolled: 5-line block ×16, first 2 shown]
	ds_read_b128 v[72:75], v67 offset:28160
	;;#ASMSTART
	
             v_fmac_f32 v56, v80, v76 
             
	;;#ASMEND
	;;#ASMSTART
	
             v_fmac_f32 v57, v80, v77 
             
	;;#ASMEND
	;; [unrolled: 5-line block ×16, first 2 shown]
	ds_read_b128 v[76:79], v67 offset:28416
	ds_read_b128 v[80:83], v66 offset:12032
	s_waitcnt lgkmcnt(2)
	;;#ASMSTART
	
             v_fmac_f32 v0, v68, v72 
             
	;;#ASMEND
	;;#ASMSTART
	
             v_fmac_f32 v1, v68, v73 
             
	;;#ASMEND
	;; [unrolled: 5-line block ×16, first 2 shown]
	s_waitcnt lgkmcnt(1)
	;;#ASMSTART
	
             v_fmac_f32 v4, v68, v76 
             
	;;#ASMEND
	;;#ASMSTART
	
             v_fmac_f32 v5, v68, v77 
             
	;;#ASMEND
	;; [unrolled: 5-line block ×16, first 2 shown]
	ds_read_b128 v[68:71], v66 offset:12288
	s_waitcnt lgkmcnt(1)
	;;#ASMSTART
	
             v_fmac_f32 v46, v80, v72 
             
	;;#ASMEND
	;;#ASMSTART
	
             v_fmac_f32 v47, v80, v73 
             
	;;#ASMEND
	;; [unrolled: 5-line block ×16, first 2 shown]
	ds_read_b128 v[72:75], v67 offset:28672
	;;#ASMSTART
	
             v_fmac_f32 v56, v80, v76 
             
	;;#ASMEND
	;;#ASMSTART
	
             v_fmac_f32 v57, v80, v77 
             
	;;#ASMEND
	;;#ASMSTART
	
             v_fmac_f32 v58, v80, v78 
             
	;;#ASMEND
	;;#ASMSTART
	
             v_fmac_f32 v59, v80, v79 
             
	;;#ASMEND
	;;#ASMSTART
	
             v_fmac_f32 v52, v81, v76 
             
	;;#ASMEND
	;;#ASMSTART
	
             v_fmac_f32 v53, v81, v77 
             
	;;#ASMEND
	;;#ASMSTART
	
             v_fmac_f32 v54, v81, v78 
             
	;;#ASMEND
	;;#ASMSTART
	
             v_fmac_f32 v55, v81, v79 
             
	;;#ASMEND
	;;#ASMSTART
	
             v_fmac_f32 v44, v82, v76 
             
	;;#ASMEND
	;;#ASMSTART
	
             v_fmac_f32 v45, v82, v77 
             
	;;#ASMEND
	;;#ASMSTART
	
             v_fmac_f32 v48, v82, v78 
             
	;;#ASMEND
	;;#ASMSTART
	
             v_fmac_f32 v49, v82, v79 
             
	;;#ASMEND
	;;#ASMSTART
	
             v_fmac_f32 v38, v83, v76 
             
	;;#ASMEND
	;;#ASMSTART
	
             v_fmac_f32 v39, v83, v77 
             
	;;#ASMEND
	;;#ASMSTART
	
             v_fmac_f32 v28, v83, v78 
             
	;;#ASMEND
	;;#ASMSTART
	
             v_fmac_f32 v29, v83, v79 
             
	;;#ASMEND
	ds_read_b128 v[76:79], v67 offset:28928
	ds_read_b128 v[80:83], v66 offset:12544
	s_waitcnt lgkmcnt(2)
	;;#ASMSTART
	
             v_fmac_f32 v0, v68, v72 
             
	;;#ASMEND
	;;#ASMSTART
	
             v_fmac_f32 v1, v68, v73 
             
	;;#ASMEND
	;; [unrolled: 5-line block ×16, first 2 shown]
	s_waitcnt lgkmcnt(1)
	;;#ASMSTART
	
             v_fmac_f32 v4, v68, v76 
             
	;;#ASMEND
	;;#ASMSTART
	
             v_fmac_f32 v5, v68, v77 
             
	;;#ASMEND
	;; [unrolled: 5-line block ×16, first 2 shown]
	ds_read_b128 v[68:71], v66 offset:12800
	s_waitcnt lgkmcnt(1)
	;;#ASMSTART
	
             v_fmac_f32 v46, v80, v72 
             
	;;#ASMEND
	;;#ASMSTART
	
             v_fmac_f32 v47, v80, v73 
             
	;;#ASMEND
	;; [unrolled: 5-line block ×16, first 2 shown]
	ds_read_b128 v[72:75], v67 offset:29184
	;;#ASMSTART
	
             v_fmac_f32 v56, v80, v76 
             
	;;#ASMEND
	;;#ASMSTART
	
             v_fmac_f32 v57, v80, v77 
             
	;;#ASMEND
	;;#ASMSTART
	
             v_fmac_f32 v58, v80, v78 
             
	;;#ASMEND
	;;#ASMSTART
	
             v_fmac_f32 v59, v80, v79 
             
	;;#ASMEND
	;;#ASMSTART
	
             v_fmac_f32 v52, v81, v76 
             
	;;#ASMEND
	;;#ASMSTART
	
             v_fmac_f32 v53, v81, v77 
             
	;;#ASMEND
	;;#ASMSTART
	
             v_fmac_f32 v54, v81, v78 
             
	;;#ASMEND
	;;#ASMSTART
	
             v_fmac_f32 v55, v81, v79 
             
	;;#ASMEND
	;;#ASMSTART
	
             v_fmac_f32 v44, v82, v76 
             
	;;#ASMEND
	;;#ASMSTART
	
             v_fmac_f32 v45, v82, v77 
             
	;;#ASMEND
	;;#ASMSTART
	
             v_fmac_f32 v48, v82, v78 
             
	;;#ASMEND
	;;#ASMSTART
	
             v_fmac_f32 v49, v82, v79 
             
	;;#ASMEND
	;;#ASMSTART
	
             v_fmac_f32 v38, v83, v76 
             
	;;#ASMEND
	;;#ASMSTART
	
             v_fmac_f32 v39, v83, v77 
             
	;;#ASMEND
	;;#ASMSTART
	
             v_fmac_f32 v28, v83, v78 
             
	;;#ASMEND
	;;#ASMSTART
	
             v_fmac_f32 v29, v83, v79 
             
	;;#ASMEND
	ds_read_b128 v[76:79], v67 offset:29440
	ds_read_b128 v[80:83], v66 offset:13056
	s_waitcnt lgkmcnt(2)
	;;#ASMSTART
	
             v_fmac_f32 v0, v68, v72 
             
	;;#ASMEND
	;;#ASMSTART
	
             v_fmac_f32 v1, v68, v73 
             
	;;#ASMEND
	;; [unrolled: 5-line block ×16, first 2 shown]
	s_waitcnt lgkmcnt(1)
	;;#ASMSTART
	
             v_fmac_f32 v4, v68, v76 
             
	;;#ASMEND
	;;#ASMSTART
	
             v_fmac_f32 v5, v68, v77 
             
	;;#ASMEND
	;; [unrolled: 5-line block ×16, first 2 shown]
	ds_read_b128 v[68:71], v66 offset:13312
	s_waitcnt lgkmcnt(1)
	;;#ASMSTART
	
             v_fmac_f32 v46, v80, v72 
             
	;;#ASMEND
	;;#ASMSTART
	
             v_fmac_f32 v47, v80, v73 
             
	;;#ASMEND
	;;#ASMSTART
	
             v_fmac_f32 v50, v80, v74 
             
	;;#ASMEND
	;;#ASMSTART
	
             v_fmac_f32 v51, v80, v75 
             
	;;#ASMEND
	;;#ASMSTART
	
             v_fmac_f32 v40, v81, v72 
             
	;;#ASMEND
	;;#ASMSTART
	
             v_fmac_f32 v41, v81, v73 
             
	;;#ASMEND
	;;#ASMSTART
	
             v_fmac_f32 v42, v81, v74 
             
	;;#ASMEND
	;;#ASMSTART
	
             v_fmac_f32 v43, v81, v75 
             
	;;#ASMEND
	;;#ASMSTART
	
             v_fmac_f32 v34, v82, v72 
             
	;;#ASMEND
	;;#ASMSTART
	
             v_fmac_f32 v35, v82, v73 
             
	;;#ASMEND
	;;#ASMSTART
	
             v_fmac_f32 v36, v82, v74 
             
	;;#ASMEND
	;;#ASMSTART
	
             v_fmac_f32 v37, v82, v75 
             
	;;#ASMEND
	;;#ASMSTART
	
             v_fmac_f32 v30, v83, v72 
             
	;;#ASMEND
	;;#ASMSTART
	
             v_fmac_f32 v31, v83, v73 
             
	;;#ASMEND
	;;#ASMSTART
	
             v_fmac_f32 v32, v83, v74 
             
	;;#ASMEND
	;;#ASMSTART
	
             v_fmac_f32 v33, v83, v75 
             
	;;#ASMEND
	ds_read_b128 v[72:75], v67 offset:29696
	;;#ASMSTART
	
             v_fmac_f32 v56, v80, v76 
             
	;;#ASMEND
	;;#ASMSTART
	
             v_fmac_f32 v57, v80, v77 
             
	;;#ASMEND
	;; [unrolled: 5-line block ×16, first 2 shown]
	ds_read_b128 v[76:79], v67 offset:29952
	ds_read_b128 v[80:83], v66 offset:13568
	s_waitcnt lgkmcnt(2)
	;;#ASMSTART
	
             v_fmac_f32 v0, v68, v72 
             
	;;#ASMEND
	;;#ASMSTART
	
             v_fmac_f32 v1, v68, v73 
             
	;;#ASMEND
	;; [unrolled: 5-line block ×16, first 2 shown]
	s_waitcnt lgkmcnt(1)
	;;#ASMSTART
	
             v_fmac_f32 v4, v68, v76 
             
	;;#ASMEND
	;;#ASMSTART
	
             v_fmac_f32 v5, v68, v77 
             
	;;#ASMEND
	;; [unrolled: 5-line block ×16, first 2 shown]
	ds_read_b128 v[68:71], v66 offset:13824
	s_waitcnt lgkmcnt(1)
	;;#ASMSTART
	
             v_fmac_f32 v46, v80, v72 
             
	;;#ASMEND
	;;#ASMSTART
	
             v_fmac_f32 v47, v80, v73 
             
	;;#ASMEND
	;; [unrolled: 5-line block ×16, first 2 shown]
	ds_read_b128 v[72:75], v67 offset:30208
	;;#ASMSTART
	
             v_fmac_f32 v56, v80, v76 
             
	;;#ASMEND
	;;#ASMSTART
	
             v_fmac_f32 v57, v80, v77 
             
	;;#ASMEND
	;; [unrolled: 5-line block ×16, first 2 shown]
	ds_read_b128 v[76:79], v67 offset:30464
	ds_read_b128 v[80:83], v66 offset:14080
	s_waitcnt lgkmcnt(2)
	;;#ASMSTART
	
             v_fmac_f32 v0, v68, v72 
             
	;;#ASMEND
	;;#ASMSTART
	
             v_fmac_f32 v1, v68, v73 
             
	;;#ASMEND
	;; [unrolled: 5-line block ×16, first 2 shown]
	s_waitcnt lgkmcnt(1)
	;;#ASMSTART
	
             v_fmac_f32 v4, v68, v76 
             
	;;#ASMEND
	;;#ASMSTART
	
             v_fmac_f32 v5, v68, v77 
             
	;;#ASMEND
	;; [unrolled: 5-line block ×16, first 2 shown]
	ds_read_b128 v[68:71], v66 offset:14336
	s_waitcnt lgkmcnt(1)
	;;#ASMSTART
	
             v_fmac_f32 v46, v80, v72 
             
	;;#ASMEND
	;;#ASMSTART
	
             v_fmac_f32 v47, v80, v73 
             
	;;#ASMEND
	;; [unrolled: 5-line block ×16, first 2 shown]
	ds_read_b128 v[72:75], v67 offset:30720
	;;#ASMSTART
	
             v_fmac_f32 v56, v80, v76 
             
	;;#ASMEND
	;;#ASMSTART
	
             v_fmac_f32 v57, v80, v77 
             
	;;#ASMEND
	;; [unrolled: 5-line block ×16, first 2 shown]
	ds_read_b128 v[76:79], v67 offset:30976
	ds_read_b128 v[80:83], v66 offset:14592
	s_waitcnt lgkmcnt(2)
	;;#ASMSTART
	
             v_fmac_f32 v0, v68, v72 
             
	;;#ASMEND
	;;#ASMSTART
	
             v_fmac_f32 v1, v68, v73 
             
	;;#ASMEND
	;; [unrolled: 5-line block ×16, first 2 shown]
	s_waitcnt lgkmcnt(1)
	;;#ASMSTART
	
             v_fmac_f32 v4, v68, v76 
             
	;;#ASMEND
	;;#ASMSTART
	
             v_fmac_f32 v5, v68, v77 
             
	;;#ASMEND
	;; [unrolled: 5-line block ×16, first 2 shown]
	ds_read_b128 v[68:71], v66 offset:14848
	s_waitcnt lgkmcnt(1)
	;;#ASMSTART
	
             v_fmac_f32 v46, v80, v72 
             
	;;#ASMEND
	;;#ASMSTART
	
             v_fmac_f32 v47, v80, v73 
             
	;;#ASMEND
	;; [unrolled: 5-line block ×16, first 2 shown]
	ds_read_b128 v[72:75], v67 offset:31232
	;;#ASMSTART
	
             v_fmac_f32 v56, v80, v76 
             
	;;#ASMEND
	;;#ASMSTART
	
             v_fmac_f32 v57, v80, v77 
             
	;;#ASMEND
	;; [unrolled: 5-line block ×16, first 2 shown]
	ds_read_b128 v[76:79], v67 offset:31488
	ds_read_b128 v[80:83], v66 offset:15104
	s_waitcnt lgkmcnt(2)
	;;#ASMSTART
	
             v_fmac_f32 v0, v68, v72 
             
	;;#ASMEND
	;;#ASMSTART
	
             v_fmac_f32 v1, v68, v73 
             
	;;#ASMEND
	;; [unrolled: 5-line block ×16, first 2 shown]
	s_waitcnt lgkmcnt(1)
	;;#ASMSTART
	
             v_fmac_f32 v4, v68, v76 
             
	;;#ASMEND
	;;#ASMSTART
	
             v_fmac_f32 v5, v68, v77 
             
	;;#ASMEND
	;; [unrolled: 5-line block ×16, first 2 shown]
	ds_read_b128 v[68:71], v66 offset:15360
	s_waitcnt lgkmcnt(1)
	;;#ASMSTART
	
             v_fmac_f32 v46, v80, v72 
             
	;;#ASMEND
	;;#ASMSTART
	
             v_fmac_f32 v47, v80, v73 
             
	;;#ASMEND
	;; [unrolled: 5-line block ×16, first 2 shown]
	ds_read_b128 v[72:75], v67 offset:31744
	;;#ASMSTART
	
             v_fmac_f32 v56, v80, v76 
             
	;;#ASMEND
	;;#ASMSTART
	
             v_fmac_f32 v57, v80, v77 
             
	;;#ASMEND
	;; [unrolled: 5-line block ×16, first 2 shown]
	ds_read_b128 v[76:79], v67 offset:32000
	ds_read_b128 v[80:83], v66 offset:15616
	s_waitcnt lgkmcnt(2)
	;;#ASMSTART
	
             v_fmac_f32 v0, v68, v72 
             
	;;#ASMEND
	;;#ASMSTART
	
             v_fmac_f32 v1, v68, v73 
             
	;;#ASMEND
	;; [unrolled: 5-line block ×16, first 2 shown]
	s_waitcnt lgkmcnt(1)
	;;#ASMSTART
	
             v_fmac_f32 v4, v68, v76 
             
	;;#ASMEND
	;;#ASMSTART
	
             v_fmac_f32 v5, v68, v77 
             
	;;#ASMEND
	;; [unrolled: 5-line block ×16, first 2 shown]
	ds_read_b128 v[68:71], v66 offset:15872
	s_waitcnt lgkmcnt(1)
	;;#ASMSTART
	
             v_fmac_f32 v46, v80, v72 
             
	;;#ASMEND
	;;#ASMSTART
	
             v_fmac_f32 v47, v80, v73 
             
	;;#ASMEND
	;;#ASMSTART
	
             v_fmac_f32 v50, v80, v74 
             
	;;#ASMEND
	;;#ASMSTART
	
             v_fmac_f32 v51, v80, v75 
             
	;;#ASMEND
	;;#ASMSTART
	
             v_fmac_f32 v40, v81, v72 
             
	;;#ASMEND
	;;#ASMSTART
	
             v_fmac_f32 v41, v81, v73 
             
	;;#ASMEND
	;;#ASMSTART
	
             v_fmac_f32 v42, v81, v74 
             
	;;#ASMEND
	;;#ASMSTART
	
             v_fmac_f32 v43, v81, v75 
             
	;;#ASMEND
	;;#ASMSTART
	
             v_fmac_f32 v34, v82, v72 
             
	;;#ASMEND
	;;#ASMSTART
	
             v_fmac_f32 v35, v82, v73 
             
	;;#ASMEND
	;;#ASMSTART
	
             v_fmac_f32 v36, v82, v74 
             
	;;#ASMEND
	;;#ASMSTART
	
             v_fmac_f32 v37, v82, v75 
             
	;;#ASMEND
	;;#ASMSTART
	
             v_fmac_f32 v30, v83, v72 
             
	;;#ASMEND
	;;#ASMSTART
	
             v_fmac_f32 v31, v83, v73 
             
	;;#ASMEND
	;;#ASMSTART
	
             v_fmac_f32 v32, v83, v74 
             
	;;#ASMEND
	;;#ASMSTART
	
             v_fmac_f32 v33, v83, v75 
             
	;;#ASMEND
	ds_read_b128 v[72:75], v67 offset:32256
	;;#ASMSTART
	
             v_fmac_f32 v56, v80, v76 
             
	;;#ASMEND
	;;#ASMSTART
	
             v_fmac_f32 v57, v80, v77 
             
	;;#ASMEND
	;; [unrolled: 5-line block ×16, first 2 shown]
	ds_read_b128 v[76:79], v67 offset:32512
	ds_read_b128 v[80:83], v66 offset:16128
	v_mul_lo_u32 v66, v65, s6
	s_waitcnt lgkmcnt(2)
	;;#ASMSTART
	
             v_fmac_f32 v0, v68, v72 
             
	;;#ASMEND
	;;#ASMSTART
	
             v_fmac_f32 v1, v68, v73 
             
	;;#ASMEND
	;; [unrolled: 5-line block ×16, first 2 shown]
	s_waitcnt lgkmcnt(1)
	;;#ASMSTART
	
             v_fmac_f32 v4, v68, v76 
             
	;;#ASMEND
	;;#ASMSTART
	
             v_fmac_f32 v5, v68, v77 
             
	;;#ASMEND
	;; [unrolled: 5-line block ×16, first 2 shown]
	s_waitcnt lgkmcnt(0)
	;;#ASMSTART
	
             v_fmac_f32 v46, v80, v72 
             
	;;#ASMEND
	;;#ASMSTART
	
             v_fmac_f32 v47, v80, v73 
             
	;;#ASMEND
	;; [unrolled: 5-line block ×16, first 2 shown]
	v_mad_u64_u32 v[74:75], s[2:3], v64, s7, v[66:67]
	s_lshl_b32 s26, s0, 2
	v_lshlrev_b32_e32 v66, 2, v74
	;;#ASMSTART
	
             v_fmac_f32 v56, v80, v76 
             
	;;#ASMEND
	;;#ASMSTART
	
             v_fmac_f32 v57, v80, v77 
             
	;;#ASMEND
	;; [unrolled: 5-line block ×16, first 2 shown]
	buffer_load_dwordx4 v[66:69], v66, s[24:27], 0 offen
	s_lshl_b32 s13, s7, 6
	v_add_lshl_u32 v70, v74, s13, 2
	buffer_load_dwordx4 v[70:73], v70, s[24:27], 0 offen
	v_add_u32_e32 v82, s6, v74
	v_lshlrev_b32_e32 v74, 2, v82
	buffer_load_dwordx4 v[74:77], v74, s[24:27], 0 offen
	v_add_lshl_u32 v78, v82, s13, 2
	buffer_load_dwordx4 v[78:81], v78, s[24:27], 0 offen
	v_add_u32_e32 v90, s6, v82
	v_lshlrev_b32_e32 v82, 2, v90
	buffer_load_dwordx4 v[82:85], v82, s[24:27], 0 offen
	v_cmp_gt_i32_e32 vcc, s12, v64
	v_cmp_gt_i32_e64 s[2:3], s10, v65
	v_add_lshl_u32 v86, v90, s13, 2
	buffer_load_dwordx4 v[86:89], v86, s[24:27], 0 offen
	s_and_b64 s[0:1], s[2:3], vcc
	v_add_u32_e32 v100, 64, v64
	v_add_u32_e32 v90, s6, v90
	v_or_b32_e32 v101, 1, v65
	s_load_dwordx2 s[8:9], s[4:5], 0x1a8
	s_load_dword s7, s[4:5], 0x1b4
	s_load_dword s11, s[4:5], 0x1c0
	;; [unrolled: 1-line block ×3, first 2 shown]
	s_mov_b32 s19, s23
	s_waitcnt lgkmcnt(0)
	s_lshl_b32 s18, s14, 2
	s_waitcnt vmcnt(5)
	v_cndmask_b32_e64 v69, 0, v69, s[0:1]
	v_cndmask_b32_e64 v68, 0, v68, s[0:1]
	;; [unrolled: 1-line block ×4, first 2 shown]
	v_cmp_gt_i32_e64 s[0:1], s12, v100
	v_pk_add_f32 v[0:1], v[0:1], v[66:67]
	v_lshlrev_b32_e32 v66, 2, v90
	s_and_b64 s[2:3], s[2:3], s[0:1]
	v_pk_add_f32 v[2:3], v[2:3], v[68:69]
	buffer_load_dwordx4 v[66:69], v66, s[24:27], 0 offen
	s_waitcnt vmcnt(5)
	v_cndmask_b32_e64 v73, 0, v73, s[2:3]
	v_cndmask_b32_e64 v72, 0, v72, s[2:3]
	v_cndmask_b32_e64 v71, 0, v71, s[2:3]
	v_cndmask_b32_e64 v70, 0, v70, s[2:3]
	v_cmp_gt_i32_e64 s[2:3], s10, v101
	v_pk_add_f32 v[4:5], v[4:5], v[70:71]
	v_add_lshl_u32 v70, v90, s13, 2
	s_and_b64 s[4:5], s[2:3], vcc
	v_pk_add_f32 v[6:7], v[6:7], v[72:73]
	buffer_load_dwordx4 v[70:73], v70, s[24:27], 0 offen
	s_waitcnt vmcnt(5)
	v_cndmask_b32_e64 v77, 0, v77, s[4:5]
	v_cndmask_b32_e64 v76, 0, v76, s[4:5]
	v_cndmask_b32_e64 v75, 0, v75, s[4:5]
	v_cndmask_b32_e64 v74, 0, v74, s[4:5]
	v_mad_u64_u32 v[90:91], s[4:5], s6, 61, v[90:91]
	v_pk_add_f32 v[8:9], v[8:9], v[74:75]
	v_lshlrev_b32_e32 v74, 2, v90
	v_pk_add_f32 v[10:11], v[10:11], v[76:77]
	buffer_load_dwordx4 v[74:77], v74, s[24:27], 0 offen
	s_and_b64 s[2:3], s[2:3], s[0:1]
	s_waitcnt vmcnt(5)
	v_cndmask_b32_e64 v79, 0, v79, s[2:3]
	v_cndmask_b32_e64 v78, 0, v78, s[2:3]
	;; [unrolled: 1-line block ×4, first 2 shown]
	v_pk_add_f32 v[12:13], v[12:13], v[78:79]
	v_add_lshl_u32 v78, v90, s13, 2
	v_cmp_gt_i32_e64 s[2:3], s10, v102
	v_pk_add_f32 v[14:15], v[14:15], v[80:81]
	buffer_load_dwordx4 v[78:81], v78, s[24:27], 0 offen
	s_and_b64 s[4:5], s[2:3], vcc
	s_waitcnt vmcnt(5)
	v_cndmask_b32_e64 v83, 0, v83, s[4:5]
	v_cndmask_b32_e64 v82, 0, v82, s[4:5]
	v_add_u32_e32 v96, s6, v90
	v_cndmask_b32_e64 v93, 0, v85, s[4:5]
	v_cndmask_b32_e64 v92, 0, v84, s[4:5]
	v_pk_add_f32 v[94:95], v[18:19], v[82:83]
	v_lshlrev_b32_e32 v18, 2, v96
	s_and_b64 s[2:3], s[2:3], s[0:1]
	buffer_load_dwordx4 v[82:85], v18, s[24:27], 0 offen
	v_pk_add_f32 v[16:17], v[16:17], v[92:93]
	s_waitcnt vmcnt(5)
	v_cndmask_b32_e64 v93, 0, v89, s[2:3]
	v_cndmask_b32_e64 v92, 0, v88, s[2:3]
	;; [unrolled: 1-line block ×3, first 2 shown]
	v_add_lshl_u32 v88, v96, s13, 2
	v_cndmask_b32_e64 v86, 0, v86, s[2:3]
	v_cmp_gt_i32_e64 s[2:3], s10, v103
	buffer_load_dwordx4 v[88:91], v88, s[24:27], 0 offen
	v_pk_add_f32 v[20:21], v[20:21], v[86:87]
	v_add_u32_e32 v86, s6, v96
	s_and_b64 s[4:5], s[2:3], vcc
	v_lshlrev_b32_e32 v87, 2, v86
	v_max_f32_e32 v19, 0, v17
	v_max_f32_e32 v18, 0, v16
	;; [unrolled: 1-line block ×4, first 2 shown]
	v_pk_add_f32 v[22:23], v[22:23], v[92:93]
	buffer_load_dwordx4 v[92:95], v87, s[24:27], 0 offen
	s_and_b64 s[2:3], s[2:3], s[0:1]
	v_add_u32_e32 v98, s6, v86
	v_max_f32_e32 v3, 0, v3
	v_max_f32_e32 v2, 0, v2
	;; [unrolled: 1-line block ×4, first 2 shown]
	s_lshl_b32 s6, s9, 6
	v_max_f32_e32 v7, 0, v7
	v_max_f32_e32 v6, 0, v6
	;; [unrolled: 1-line block ×14, first 2 shown]
	s_waitcnt vmcnt(6)
	v_cndmask_b32_e64 v67, 0, v67, s[4:5]
	v_cndmask_b32_e64 v66, 0, v66, s[4:5]
	;; [unrolled: 1-line block ×4, first 2 shown]
	v_pk_add_f32 v[24:25], v[24:25], v[66:67]
	v_add_lshl_u32 v66, v86, s13, 2
	v_pk_add_f32 v[26:27], v[26:27], v[68:69]
	buffer_load_dwordx4 v[66:69], v66, s[24:27], 0 offen
	v_max_f32_e32 v21, 0, v21
	v_max_f32_e32 v20, 0, v20
	s_waitcnt vmcnt(6)
	v_cndmask_b32_e64 v73, 0, v73, s[2:3]
	v_cndmask_b32_e64 v72, 0, v72, s[2:3]
	;; [unrolled: 1-line block ×4, first 2 shown]
	v_cmp_gt_i32_e64 s[2:3], s10, v104
	v_pk_add_f32 v[60:61], v[60:61], v[70:71]
	v_lshlrev_b32_e32 v70, 2, v98
	s_and_b64 s[4:5], s[2:3], vcc
	v_pk_add_f32 v[62:63], v[62:63], v[72:73]
	buffer_load_dwordx4 v[70:73], v70, s[24:27], 0 offen
	s_waitcnt vmcnt(6)
	v_cndmask_b32_e64 v96, 0, v74, s[4:5]
	v_add_lshl_u32 v74, v98, s13, 2
	v_cndmask_b32_e64 v87, 0, v77, s[4:5]
	v_cndmask_b32_e64 v86, 0, v76, s[4:5]
	;; [unrolled: 1-line block ×3, first 2 shown]
	buffer_load_dwordx4 v[74:77], v74, s[24:27], 0 offen
	v_pk_add_f32 v[50:51], v[50:51], v[86:87]
	s_and_b64 s[2:3], s[2:3], s[0:1]
	v_pk_add_f32 v[46:47], v[46:47], v[96:97]
	v_max_f32_e32 v98, 0, v50
	s_waitcnt vmcnt(6)
	v_cndmask_b32_e64 v50, 0, v78, s[2:3]
	v_add_u32_e32 v78, 0x41, v65
	v_max_f32_e32 v99, 0, v51
	v_max_f32_e32 v97, 0, v47
	;; [unrolled: 1-line block ×3, first 2 shown]
	v_cndmask_b32_e64 v47, 0, v81, s[2:3]
	v_cndmask_b32_e64 v46, 0, v80, s[2:3]
	;; [unrolled: 1-line block ×3, first 2 shown]
	v_cmp_gt_i32_e64 s[2:3], s10, v78
	v_pk_add_f32 v[50:51], v[56:57], v[50:51]
	v_pk_add_f32 v[46:47], v[58:59], v[46:47]
	s_and_b64 s[4:5], s[2:3], vcc
	v_max_f32_e32 v59, 0, v47
	v_max_f32_e32 v58, 0, v46
	;; [unrolled: 1-line block ×4, first 2 shown]
	s_waitcnt vmcnt(5)
	v_cndmask_b32_e64 v47, 0, v85, s[4:5]
	v_cndmask_b32_e64 v46, 0, v84, s[4:5]
	;; [unrolled: 1-line block ×4, first 2 shown]
	s_and_b64 s[2:3], s[2:3], s[0:1]
	v_add_u32_e32 v79, 0x42, v65
	v_pk_add_f32 v[40:41], v[40:41], v[50:51]
	v_pk_add_f32 v[42:43], v[42:43], v[46:47]
	s_waitcnt vmcnt(4)
	v_cndmask_b32_e64 v47, 0, v91, s[2:3]
	v_cndmask_b32_e64 v46, 0, v90, s[2:3]
	;; [unrolled: 1-line block ×4, first 2 shown]
	v_cmp_gt_i32_e64 s[2:3], s10, v79
	v_pk_add_f32 v[46:47], v[54:55], v[46:47]
	s_and_b64 s[4:5], s[2:3], vcc
	v_pk_add_f32 v[50:51], v[52:53], v[50:51]
	v_max_f32_e32 v53, 0, v47
	v_max_f32_e32 v52, 0, v46
	s_waitcnt vmcnt(3)
	v_cndmask_b32_e64 v47, 0, v95, s[4:5]
	v_cndmask_b32_e64 v46, 0, v94, s[4:5]
	;; [unrolled: 1-line block ×4, first 2 shown]
	s_and_b64 s[2:3], s[2:3], s[0:1]
	v_add_u32_e32 v80, 0x43, v65
	v_pk_add_f32 v[34:35], v[34:35], v[54:55]
	v_pk_add_f32 v[36:37], v[36:37], v[46:47]
	v_max_f32_e32 v63, 0, v63
	v_max_f32_e32 v62, 0, v62
	;; [unrolled: 1-line block ×15, first 2 shown]
	s_waitcnt vmcnt(2)
	v_cndmask_b32_e64 v47, 0, v69, s[2:3]
	v_cndmask_b32_e64 v46, 0, v68, s[2:3]
	v_cndmask_b32_e64 v55, 0, v67, s[2:3]
	v_cndmask_b32_e64 v54, 0, v66, s[2:3]
	v_cmp_gt_i32_e64 s[2:3], s10, v80
	s_and_b64 vcc, s[2:3], vcc
	v_pk_add_f32 v[44:45], v[44:45], v[54:55]
	v_pk_add_f32 v[46:47], v[48:49], v[46:47]
	s_lshl_b32 s10, s8, 8
	v_max_f32_e32 v47, 0, v47
	v_max_f32_e32 v46, 0, v46
	;; [unrolled: 1-line block ×3, first 2 shown]
	s_waitcnt vmcnt(1)
	v_cndmask_b32_e32 v49, 0, v73, vcc
	v_cndmask_b32_e32 v48, 0, v72, vcc
	;; [unrolled: 1-line block ×4, first 2 shown]
	s_and_b64 vcc, s[2:3], s[0:1]
	v_pk_add_f32 v[32:33], v[32:33], v[48:49]
	s_waitcnt vmcnt(0)
	v_cndmask_b32_e32 v49, 0, v77, vcc
	v_cndmask_b32_e32 v48, 0, v76, vcc
	v_pk_add_f32 v[28:29], v[28:29], v[48:49]
	v_max_f32_e32 v68, 0, v28
	v_mul_lo_u32 v28, v65, s8
	v_max_f32_e32 v69, 0, v29
	v_mad_u64_u32 v[28:29], s[0:1], v64, s9, v[28:29]
	v_pk_add_f32 v[30:31], v[30:31], v[54:55]
	v_cndmask_b32_e32 v55, 0, v75, vcc
	v_cndmask_b32_e32 v54, 0, v74, vcc
	v_cmp_gt_i32_e32 vcc, s11, v64
	v_cmp_gt_i32_e64 s[0:1], s7, v65
	v_pk_add_f32 v[38:39], v[38:39], v[54:55]
	v_bfrev_b32_e32 v29, 1
	s_and_b64 s[2:3], s[0:1], vcc
	v_max_f32_e32 v66, 0, v38
	v_cndmask_b32_e64 v38, v29, 0, s[2:3]
	v_cmp_gt_i32_e64 s[2:3], s11, v100
	v_lshl_add_u32 v38, v28, 2, v38
	s_and_b64 s[0:1], s[0:1], s[2:3]
	buffer_store_dwordx4 v[0:3], v38, s[16:19], 0 offen
	v_max_f32_e32 v33, 0, v33
	v_add_u32_e32 v0, s6, v28
	v_cndmask_b32_e64 v1, v29, 0, s[0:1]
	v_cmp_gt_i32_e64 s[0:1], s7, v101
	v_lshl_add_u32 v1, v0, 2, v1
	s_and_b64 s[4:5], s[0:1], s[2:3]
	buffer_store_dwordx4 v[4:7], v1, s[16:19], 0 offen
	v_add_u32_e32 v0, s8, v0
	v_cndmask_b32_e64 v1, v29, 0, s[4:5]
	v_lshl_add_u32 v1, v0, 2, v1
	s_and_b64 s[0:1], s[0:1], vcc
	buffer_store_dwordx4 v[12:15], v1, s[16:19], 0 offen
	v_add_u32_e32 v1, s8, v28
	v_cndmask_b32_e64 v2, v29, 0, s[0:1]
	v_cmp_gt_i32_e64 s[0:1], s7, v102
	v_lshl_add_u32 v2, v1, 2, v2
	s_and_b64 s[4:5], s[0:1], vcc
	buffer_store_dwordx4 v[8:11], v2, s[16:19], 0 offen
	v_add_u32_e32 v1, s8, v1
	v_cndmask_b32_e64 v2, v29, 0, s[4:5]
	v_lshl_add_u32 v1, v1, 2, v2
	s_and_b64 s[0:1], s[0:1], s[2:3]
	buffer_store_dwordx4 v[16:19], v1, s[16:19], 0 offen
	v_add_u32_e32 v0, s8, v0
	v_cndmask_b32_e64 v1, v29, 0, s[0:1]
	v_cmp_gt_i32_e64 s[0:1], s7, v103
	v_lshl_add_u32 v1, v0, 2, v1
	s_and_b64 s[4:5], s[0:1], s[2:3]
	buffer_store_dwordx4 v[20:23], v1, s[16:19], 0 offen
	v_add_u32_e32 v0, s8, v0
	v_cndmask_b32_e64 v1, v29, 0, s[4:5]
	v_lshl_add_u32 v1, v0, 2, v1
	v_subrev_u32_e32 v0, s6, v0
	s_and_b64 s[0:1], s[0:1], vcc
	buffer_store_dwordx4 v[60:63], v1, s[16:19], 0 offen
	v_lshlrev_b32_e32 v1, 2, v0
	v_cndmask_b32_e64 v2, v29, 0, s[0:1]
	v_cmp_gt_i32_e64 s[0:1], s7, v80
	v_add_u32_e32 v2, v1, v2
	s_and_b64 s[4:5], s[0:1], vcc
	buffer_store_dwordx4 v[24:27], v2, s[16:19], 0 offen
	v_cndmask_b32_e64 v2, v29, 0, s[4:5]
	v_max_f32_e32 v32, 0, v32
	v_max_f32_e32 v31, 0, v31
	;; [unrolled: 1-line block ×3, first 2 shown]
	v_add3_u32 v1, v2, s10, v1
	s_add_i32 s4, s9, s8
	s_and_b64 s[0:1], s[0:1], s[2:3]
	buffer_store_dwordx4 v[30:33], v1, s[16:19], 0 offen
	v_lshl_add_u32 v0, s4, 6, v0
	v_cndmask_b32_e64 v1, v29, 0, s[0:1]
	v_cmp_ge_i32_e64 s[0:1], s7, v80
	v_max_f32_e32 v67, 0, v39
	v_lshl_add_u32 v1, v0, 2, v1
	s_and_b64 s[0:1], s[0:1], s[2:3]
	buffer_store_dwordx4 v[66:69], v1, s[16:19], 0 offen
	v_subrev_u32_e32 v0, s8, v0
	v_cndmask_b32_e64 v1, v29, 0, s[0:1]
	v_cmp_gt_i32_e64 s[0:1], s7, v79
	v_max_f32_e32 v44, 0, v44
	v_lshl_add_u32 v1, v0, 2, v1
	s_and_b64 s[0:1], s[0:1], vcc
	buffer_store_dwordx4 v[44:47], v1, s[16:19], 0 offen
	v_subrev_u32_e32 v0, s6, v0
	v_cndmask_b32_e64 v1, v29, 0, s[0:1]
	v_cmp_ge_i32_e64 s[0:1], s7, v79
	v_lshl_add_u32 v1, v0, 2, v1
	s_and_b64 s[0:1], s[0:1], vcc
	buffer_store_dwordx4 v[34:37], v1, s[16:19], 0 offen
	v_subrev_u32_e32 v0, s8, v0
	v_cndmask_b32_e64 v1, v29, 0, s[0:1]
	v_cmp_gt_i32_e64 s[0:1], s7, v78
	v_max_f32_e32 v40, 0, v40
	v_lshl_add_u32 v1, v0, 2, v1
	s_and_b64 s[0:1], s[0:1], s[2:3]
	buffer_store_dwordx4 v[40:43], v1, s[16:19], 0 offen
	v_add_u32_e32 v0, s6, v0
	v_cndmask_b32_e64 v1, v29, 0, s[0:1]
	v_cmp_ge_i32_e64 s[0:1], s7, v78
	v_max_f32_e32 v51, 0, v51
	v_max_f32_e32 v50, 0, v50
	v_lshl_add_u32 v1, v0, 2, v1
	v_subrev_u32_e32 v0, s8, v0
	s_and_b64 s[0:1], s[0:1], s[2:3]
	buffer_store_dwordx4 v[50:53], v1, s[16:19], 0 offen
	v_lshlrev_b32_e32 v0, 2, v0
	v_cndmask_b32_e64 v1, v29, 0, s[0:1]
	v_cmp_gt_i32_e64 s[0:1], s7, v104
	v_add_u32_e32 v1, v0, v1
	s_and_b64 s[0:1], s[0:1], vcc
	buffer_store_dwordx4 v[56:59], v1, s[16:19], 0 offen
	v_cndmask_b32_e64 v1, v29, 0, s[0:1]
	s_lshl_b32 s0, s9, 8
	v_subrev_u32_e32 v1, s0, v1
	v_add_u32_e32 v0, v1, v0
	buffer_store_dwordx4 v[96:99], v0, s[16:19], 0 offen
	s_endpgm
	.section	.rodata,"a",@progbits
	.p2align	6, 0x0
	.amdhsa_kernel _ZN2ck16tensor_operation6device12_GLOBAL__N_137kernel_grouped_conv_fwd_dl_multiple_dINS_32GridwiseGemmDlMultipleD_km_kn_mnILi256EffNS_5TupleIJfEEEfNS0_12element_wise11PassThroughES8_NS7_7AddReluELNS_25InMemoryDataOperationEnumE0ENS_16TensorDescriptorINS5_IJNS_5EmbedINS5_IJiiiEEESD_Lb0EEENS_11PassThroughIiEENS_3PadIiiiLb0EEESG_SG_NSC_INS5_IJiiEEESJ_Lb0EEESG_NS_23Merge_v2_magic_divisionISJ_EESM_NS_8RightPadIiiLb0EEESO_NS_7UnMergeISJ_Lb0EEESG_EEENS5_IJNS_8SequenceIJLi0EEEENSS_IJLi1EEEENSS_IJLi2EEEENSS_IJLi3EEEENSS_IJLi4EEEENSS_IJLi5EEEENSS_IJLi6EEEENSS_IJLi7ELi9EEEENSS_IJLi8ELi10EEEENSS_IJLi11EEEENSS_IJLi12EEEENSS_IJLi14EEEENSS_IJLi13EEEEEEENS5_IJNSS_IJLi1ELi2ELi3EEEESX_SY_SZ_NSS_IJLi7EEEENSS_IJLi8ELi9EEEENSS_IJLi10EEEES12_S13_S15_S14_NSS_IJLi15ELi16EEEENSS_IJLi17EEEEEEENSS_IJLi15ELi17ELi16EEEElEENSB_INS5_IJSQ_SO_SO_SQ_SG_EEENS5_IJST_SU_SV_SX_SW_EEENS5_IJNSS_IJLi1ELi2EEEESW_SX_NSS_IJLi5ELi6EEEES18_EEENSS_IJLi5ELi7ELi6EEEElEENSB_INS5_IJSK_SO_SO_EEENS5_IJST_SU_SV_EEENS5_IJS1I_SW_SX_EEENSS_IJLi3ELi4EEEElEELi128ELi128ELi16ELi1ELi4ELi4ELi1ENSS_IJLi8ELi2EEEES1S_NSS_IJLi8ELi1ELi1ELi1EEEENSS_IJLi2ELi1ELi128ELi1EEEENSS_IJLi1ELi2ELi0ELi3EEEES1V_NSS_IJLi4ELi1ELi1ELi1EEEES1V_NSS_IJLi1ELi1ELi1ELi1EEEES1T_S1U_S1V_S1V_S1W_S1V_S1X_NSS_IJLi0ELi1ELi2ELi3ELi4ELi5EEEELi5ELi4EEEfNS5_IJPKfEEEfS8_S8_S9_NSB_INS5_IJSE_SG_SI_SG_SG_SK_SG_SM_SM_SO_SO_SQ_SG_SG_NSP_INS5_IJiNS_17integral_constantIiLi128EEEEEELb0EEENSF_INS23_IiLi1EEEEEEEENS5_IJST_SU_SV_SW_SX_SY_SZ_S10_S11_S12_S13_S14_S15_NSS_IJLi15EEEES1C_NSS_IJLi16EEEEEEENS5_IJS17_SX_SY_SZ_S18_S19_S1A_S12_S13_S15_S14_S1B_S1C_NSS_IJLi18EEEENSS_IJLi19ELi20EEEENSS_IJLi21EEEEEEENSS_IJLi18ELi19ELi20ELi21EEEElEENSB_INS5_IJSQ_SO_SO_SQ_SG_SG_S26_S28_EEENS5_IJST_SU_SV_SX_SW_SY_S18_SZ_EEENS5_IJS1I_SW_SX_S1J_S18_NSS_IJLi8EEEENSS_IJLi9ELi10EEEES12_EEENSS_IJLi8ELi9ELi10ELi11EEEElEENS5_IJNSB_INS5_IJSK_SO_SO_NSP_INS5_IJiNS23_IiLi2EEENS23_IiLi64EEEEEELb0EEES2T_EEENS5_IJST_SU_SV_SW_SX_EEENS5_IJS1I_SW_SX_NSS_IJLi5ELi6ELi7EEEENSS_IJLi8ELi9ELi10EEEEEEENSS_IJLi5ELi6ELi7ELi8ELi9ELi10EEEElEEEEES30_NS_31BlockToCTileMap_M00_N00_M01_N01ILi128ELi128ES1R_Lb0EEENS1_30ComputePtrOffsetOfStridedBatchILi1ELi1ELi1EvEELb0ELb1EEEvPKT0_S38_T1_PT2_T3_T4_T5_iT6_T7_T8_T9_T10_T11_
		.amdhsa_group_segment_fixed_size 32768
		.amdhsa_private_segment_fixed_size 0
		.amdhsa_kernarg_size 904
		.amdhsa_user_sgpr_count 6
		.amdhsa_user_sgpr_private_segment_buffer 1
		.amdhsa_user_sgpr_dispatch_ptr 0
		.amdhsa_user_sgpr_queue_ptr 0
		.amdhsa_user_sgpr_kernarg_segment_ptr 1
		.amdhsa_user_sgpr_dispatch_id 0
		.amdhsa_user_sgpr_flat_scratch_init 0
		.amdhsa_user_sgpr_kernarg_preload_length 0
		.amdhsa_user_sgpr_kernarg_preload_offset 0
		.amdhsa_user_sgpr_private_segment_size 0
		.amdhsa_uses_dynamic_stack 0
		.amdhsa_system_sgpr_private_segment_wavefront_offset 0
		.amdhsa_system_sgpr_workgroup_id_x 1
		.amdhsa_system_sgpr_workgroup_id_y 0
		.amdhsa_system_sgpr_workgroup_id_z 0
		.amdhsa_system_sgpr_workgroup_info 0
		.amdhsa_system_vgpr_workitem_id 0
		.amdhsa_next_free_vgpr 105
		.amdhsa_next_free_sgpr 62
		.amdhsa_accum_offset 108
		.amdhsa_reserve_vcc 1
		.amdhsa_reserve_flat_scratch 0
		.amdhsa_float_round_mode_32 0
		.amdhsa_float_round_mode_16_64 0
		.amdhsa_float_denorm_mode_32 3
		.amdhsa_float_denorm_mode_16_64 3
		.amdhsa_dx10_clamp 1
		.amdhsa_ieee_mode 1
		.amdhsa_fp16_overflow 0
		.amdhsa_tg_split 0
		.amdhsa_exception_fp_ieee_invalid_op 0
		.amdhsa_exception_fp_denorm_src 0
		.amdhsa_exception_fp_ieee_div_zero 0
		.amdhsa_exception_fp_ieee_overflow 0
		.amdhsa_exception_fp_ieee_underflow 0
		.amdhsa_exception_fp_ieee_inexact 0
		.amdhsa_exception_int_div_zero 0
	.end_amdhsa_kernel
	.section	.text._ZN2ck16tensor_operation6device12_GLOBAL__N_137kernel_grouped_conv_fwd_dl_multiple_dINS_32GridwiseGemmDlMultipleD_km_kn_mnILi256EffNS_5TupleIJfEEEfNS0_12element_wise11PassThroughES8_NS7_7AddReluELNS_25InMemoryDataOperationEnumE0ENS_16TensorDescriptorINS5_IJNS_5EmbedINS5_IJiiiEEESD_Lb0EEENS_11PassThroughIiEENS_3PadIiiiLb0EEESG_SG_NSC_INS5_IJiiEEESJ_Lb0EEESG_NS_23Merge_v2_magic_divisionISJ_EESM_NS_8RightPadIiiLb0EEESO_NS_7UnMergeISJ_Lb0EEESG_EEENS5_IJNS_8SequenceIJLi0EEEENSS_IJLi1EEEENSS_IJLi2EEEENSS_IJLi3EEEENSS_IJLi4EEEENSS_IJLi5EEEENSS_IJLi6EEEENSS_IJLi7ELi9EEEENSS_IJLi8ELi10EEEENSS_IJLi11EEEENSS_IJLi12EEEENSS_IJLi14EEEENSS_IJLi13EEEEEEENS5_IJNSS_IJLi1ELi2ELi3EEEESX_SY_SZ_NSS_IJLi7EEEENSS_IJLi8ELi9EEEENSS_IJLi10EEEES12_S13_S15_S14_NSS_IJLi15ELi16EEEENSS_IJLi17EEEEEEENSS_IJLi15ELi17ELi16EEEElEENSB_INS5_IJSQ_SO_SO_SQ_SG_EEENS5_IJST_SU_SV_SX_SW_EEENS5_IJNSS_IJLi1ELi2EEEESW_SX_NSS_IJLi5ELi6EEEES18_EEENSS_IJLi5ELi7ELi6EEEElEENSB_INS5_IJSK_SO_SO_EEENS5_IJST_SU_SV_EEENS5_IJS1I_SW_SX_EEENSS_IJLi3ELi4EEEElEELi128ELi128ELi16ELi1ELi4ELi4ELi1ENSS_IJLi8ELi2EEEES1S_NSS_IJLi8ELi1ELi1ELi1EEEENSS_IJLi2ELi1ELi128ELi1EEEENSS_IJLi1ELi2ELi0ELi3EEEES1V_NSS_IJLi4ELi1ELi1ELi1EEEES1V_NSS_IJLi1ELi1ELi1ELi1EEEES1T_S1U_S1V_S1V_S1W_S1V_S1X_NSS_IJLi0ELi1ELi2ELi3ELi4ELi5EEEELi5ELi4EEEfNS5_IJPKfEEEfS8_S8_S9_NSB_INS5_IJSE_SG_SI_SG_SG_SK_SG_SM_SM_SO_SO_SQ_SG_SG_NSP_INS5_IJiNS_17integral_constantIiLi128EEEEEELb0EEENSF_INS23_IiLi1EEEEEEEENS5_IJST_SU_SV_SW_SX_SY_SZ_S10_S11_S12_S13_S14_S15_NSS_IJLi15EEEES1C_NSS_IJLi16EEEEEEENS5_IJS17_SX_SY_SZ_S18_S19_S1A_S12_S13_S15_S14_S1B_S1C_NSS_IJLi18EEEENSS_IJLi19ELi20EEEENSS_IJLi21EEEEEEENSS_IJLi18ELi19ELi20ELi21EEEElEENSB_INS5_IJSQ_SO_SO_SQ_SG_SG_S26_S28_EEENS5_IJST_SU_SV_SX_SW_SY_S18_SZ_EEENS5_IJS1I_SW_SX_S1J_S18_NSS_IJLi8EEEENSS_IJLi9ELi10EEEES12_EEENSS_IJLi8ELi9ELi10ELi11EEEElEENS5_IJNSB_INS5_IJSK_SO_SO_NSP_INS5_IJiNS23_IiLi2EEENS23_IiLi64EEEEEELb0EEES2T_EEENS5_IJST_SU_SV_SW_SX_EEENS5_IJS1I_SW_SX_NSS_IJLi5ELi6ELi7EEEENSS_IJLi8ELi9ELi10EEEEEEENSS_IJLi5ELi6ELi7ELi8ELi9ELi10EEEElEEEEES30_NS_31BlockToCTileMap_M00_N00_M01_N01ILi128ELi128ES1R_Lb0EEENS1_30ComputePtrOffsetOfStridedBatchILi1ELi1ELi1EvEELb0ELb1EEEvPKT0_S38_T1_PT2_T3_T4_T5_iT6_T7_T8_T9_T10_T11_,"axG",@progbits,_ZN2ck16tensor_operation6device12_GLOBAL__N_137kernel_grouped_conv_fwd_dl_multiple_dINS_32GridwiseGemmDlMultipleD_km_kn_mnILi256EffNS_5TupleIJfEEEfNS0_12element_wise11PassThroughES8_NS7_7AddReluELNS_25InMemoryDataOperationEnumE0ENS_16TensorDescriptorINS5_IJNS_5EmbedINS5_IJiiiEEESD_Lb0EEENS_11PassThroughIiEENS_3PadIiiiLb0EEESG_SG_NSC_INS5_IJiiEEESJ_Lb0EEESG_NS_23Merge_v2_magic_divisionISJ_EESM_NS_8RightPadIiiLb0EEESO_NS_7UnMergeISJ_Lb0EEESG_EEENS5_IJNS_8SequenceIJLi0EEEENSS_IJLi1EEEENSS_IJLi2EEEENSS_IJLi3EEEENSS_IJLi4EEEENSS_IJLi5EEEENSS_IJLi6EEEENSS_IJLi7ELi9EEEENSS_IJLi8ELi10EEEENSS_IJLi11EEEENSS_IJLi12EEEENSS_IJLi14EEEENSS_IJLi13EEEEEEENS5_IJNSS_IJLi1ELi2ELi3EEEESX_SY_SZ_NSS_IJLi7EEEENSS_IJLi8ELi9EEEENSS_IJLi10EEEES12_S13_S15_S14_NSS_IJLi15ELi16EEEENSS_IJLi17EEEEEEENSS_IJLi15ELi17ELi16EEEElEENSB_INS5_IJSQ_SO_SO_SQ_SG_EEENS5_IJST_SU_SV_SX_SW_EEENS5_IJNSS_IJLi1ELi2EEEESW_SX_NSS_IJLi5ELi6EEEES18_EEENSS_IJLi5ELi7ELi6EEEElEENSB_INS5_IJSK_SO_SO_EEENS5_IJST_SU_SV_EEENS5_IJS1I_SW_SX_EEENSS_IJLi3ELi4EEEElEELi128ELi128ELi16ELi1ELi4ELi4ELi1ENSS_IJLi8ELi2EEEES1S_NSS_IJLi8ELi1ELi1ELi1EEEENSS_IJLi2ELi1ELi128ELi1EEEENSS_IJLi1ELi2ELi0ELi3EEEES1V_NSS_IJLi4ELi1ELi1ELi1EEEES1V_NSS_IJLi1ELi1ELi1ELi1EEEES1T_S1U_S1V_S1V_S1W_S1V_S1X_NSS_IJLi0ELi1ELi2ELi3ELi4ELi5EEEELi5ELi4EEEfNS5_IJPKfEEEfS8_S8_S9_NSB_INS5_IJSE_SG_SI_SG_SG_SK_SG_SM_SM_SO_SO_SQ_SG_SG_NSP_INS5_IJiNS_17integral_constantIiLi128EEEEEELb0EEENSF_INS23_IiLi1EEEEEEEENS5_IJST_SU_SV_SW_SX_SY_SZ_S10_S11_S12_S13_S14_S15_NSS_IJLi15EEEES1C_NSS_IJLi16EEEEEEENS5_IJS17_SX_SY_SZ_S18_S19_S1A_S12_S13_S15_S14_S1B_S1C_NSS_IJLi18EEEENSS_IJLi19ELi20EEEENSS_IJLi21EEEEEEENSS_IJLi18ELi19ELi20ELi21EEEElEENSB_INS5_IJSQ_SO_SO_SQ_SG_SG_S26_S28_EEENS5_IJST_SU_SV_SX_SW_SY_S18_SZ_EEENS5_IJS1I_SW_SX_S1J_S18_NSS_IJLi8EEEENSS_IJLi9ELi10EEEES12_EEENSS_IJLi8ELi9ELi10ELi11EEEElEENS5_IJNSB_INS5_IJSK_SO_SO_NSP_INS5_IJiNS23_IiLi2EEENS23_IiLi64EEEEEELb0EEES2T_EEENS5_IJST_SU_SV_SW_SX_EEENS5_IJS1I_SW_SX_NSS_IJLi5ELi6ELi7EEEENSS_IJLi8ELi9ELi10EEEEEEENSS_IJLi5ELi6ELi7ELi8ELi9ELi10EEEElEEEEES30_NS_31BlockToCTileMap_M00_N00_M01_N01ILi128ELi128ES1R_Lb0EEENS1_30ComputePtrOffsetOfStridedBatchILi1ELi1ELi1EvEELb0ELb1EEEvPKT0_S38_T1_PT2_T3_T4_T5_iT6_T7_T8_T9_T10_T11_,comdat
.Lfunc_end5:
	.size	_ZN2ck16tensor_operation6device12_GLOBAL__N_137kernel_grouped_conv_fwd_dl_multiple_dINS_32GridwiseGemmDlMultipleD_km_kn_mnILi256EffNS_5TupleIJfEEEfNS0_12element_wise11PassThroughES8_NS7_7AddReluELNS_25InMemoryDataOperationEnumE0ENS_16TensorDescriptorINS5_IJNS_5EmbedINS5_IJiiiEEESD_Lb0EEENS_11PassThroughIiEENS_3PadIiiiLb0EEESG_SG_NSC_INS5_IJiiEEESJ_Lb0EEESG_NS_23Merge_v2_magic_divisionISJ_EESM_NS_8RightPadIiiLb0EEESO_NS_7UnMergeISJ_Lb0EEESG_EEENS5_IJNS_8SequenceIJLi0EEEENSS_IJLi1EEEENSS_IJLi2EEEENSS_IJLi3EEEENSS_IJLi4EEEENSS_IJLi5EEEENSS_IJLi6EEEENSS_IJLi7ELi9EEEENSS_IJLi8ELi10EEEENSS_IJLi11EEEENSS_IJLi12EEEENSS_IJLi14EEEENSS_IJLi13EEEEEEENS5_IJNSS_IJLi1ELi2ELi3EEEESX_SY_SZ_NSS_IJLi7EEEENSS_IJLi8ELi9EEEENSS_IJLi10EEEES12_S13_S15_S14_NSS_IJLi15ELi16EEEENSS_IJLi17EEEEEEENSS_IJLi15ELi17ELi16EEEElEENSB_INS5_IJSQ_SO_SO_SQ_SG_EEENS5_IJST_SU_SV_SX_SW_EEENS5_IJNSS_IJLi1ELi2EEEESW_SX_NSS_IJLi5ELi6EEEES18_EEENSS_IJLi5ELi7ELi6EEEElEENSB_INS5_IJSK_SO_SO_EEENS5_IJST_SU_SV_EEENS5_IJS1I_SW_SX_EEENSS_IJLi3ELi4EEEElEELi128ELi128ELi16ELi1ELi4ELi4ELi1ENSS_IJLi8ELi2EEEES1S_NSS_IJLi8ELi1ELi1ELi1EEEENSS_IJLi2ELi1ELi128ELi1EEEENSS_IJLi1ELi2ELi0ELi3EEEES1V_NSS_IJLi4ELi1ELi1ELi1EEEES1V_NSS_IJLi1ELi1ELi1ELi1EEEES1T_S1U_S1V_S1V_S1W_S1V_S1X_NSS_IJLi0ELi1ELi2ELi3ELi4ELi5EEEELi5ELi4EEEfNS5_IJPKfEEEfS8_S8_S9_NSB_INS5_IJSE_SG_SI_SG_SG_SK_SG_SM_SM_SO_SO_SQ_SG_SG_NSP_INS5_IJiNS_17integral_constantIiLi128EEEEEELb0EEENSF_INS23_IiLi1EEEEEEEENS5_IJST_SU_SV_SW_SX_SY_SZ_S10_S11_S12_S13_S14_S15_NSS_IJLi15EEEES1C_NSS_IJLi16EEEEEEENS5_IJS17_SX_SY_SZ_S18_S19_S1A_S12_S13_S15_S14_S1B_S1C_NSS_IJLi18EEEENSS_IJLi19ELi20EEEENSS_IJLi21EEEEEEENSS_IJLi18ELi19ELi20ELi21EEEElEENSB_INS5_IJSQ_SO_SO_SQ_SG_SG_S26_S28_EEENS5_IJST_SU_SV_SX_SW_SY_S18_SZ_EEENS5_IJS1I_SW_SX_S1J_S18_NSS_IJLi8EEEENSS_IJLi9ELi10EEEES12_EEENSS_IJLi8ELi9ELi10ELi11EEEElEENS5_IJNSB_INS5_IJSK_SO_SO_NSP_INS5_IJiNS23_IiLi2EEENS23_IiLi64EEEEEELb0EEES2T_EEENS5_IJST_SU_SV_SW_SX_EEENS5_IJS1I_SW_SX_NSS_IJLi5ELi6ELi7EEEENSS_IJLi8ELi9ELi10EEEEEEENSS_IJLi5ELi6ELi7ELi8ELi9ELi10EEEElEEEEES30_NS_31BlockToCTileMap_M00_N00_M01_N01ILi128ELi128ES1R_Lb0EEENS1_30ComputePtrOffsetOfStridedBatchILi1ELi1ELi1EvEELb0ELb1EEEvPKT0_S38_T1_PT2_T3_T4_T5_iT6_T7_T8_T9_T10_T11_, .Lfunc_end5-_ZN2ck16tensor_operation6device12_GLOBAL__N_137kernel_grouped_conv_fwd_dl_multiple_dINS_32GridwiseGemmDlMultipleD_km_kn_mnILi256EffNS_5TupleIJfEEEfNS0_12element_wise11PassThroughES8_NS7_7AddReluELNS_25InMemoryDataOperationEnumE0ENS_16TensorDescriptorINS5_IJNS_5EmbedINS5_IJiiiEEESD_Lb0EEENS_11PassThroughIiEENS_3PadIiiiLb0EEESG_SG_NSC_INS5_IJiiEEESJ_Lb0EEESG_NS_23Merge_v2_magic_divisionISJ_EESM_NS_8RightPadIiiLb0EEESO_NS_7UnMergeISJ_Lb0EEESG_EEENS5_IJNS_8SequenceIJLi0EEEENSS_IJLi1EEEENSS_IJLi2EEEENSS_IJLi3EEEENSS_IJLi4EEEENSS_IJLi5EEEENSS_IJLi6EEEENSS_IJLi7ELi9EEEENSS_IJLi8ELi10EEEENSS_IJLi11EEEENSS_IJLi12EEEENSS_IJLi14EEEENSS_IJLi13EEEEEEENS5_IJNSS_IJLi1ELi2ELi3EEEESX_SY_SZ_NSS_IJLi7EEEENSS_IJLi8ELi9EEEENSS_IJLi10EEEES12_S13_S15_S14_NSS_IJLi15ELi16EEEENSS_IJLi17EEEEEEENSS_IJLi15ELi17ELi16EEEElEENSB_INS5_IJSQ_SO_SO_SQ_SG_EEENS5_IJST_SU_SV_SX_SW_EEENS5_IJNSS_IJLi1ELi2EEEESW_SX_NSS_IJLi5ELi6EEEES18_EEENSS_IJLi5ELi7ELi6EEEElEENSB_INS5_IJSK_SO_SO_EEENS5_IJST_SU_SV_EEENS5_IJS1I_SW_SX_EEENSS_IJLi3ELi4EEEElEELi128ELi128ELi16ELi1ELi4ELi4ELi1ENSS_IJLi8ELi2EEEES1S_NSS_IJLi8ELi1ELi1ELi1EEEENSS_IJLi2ELi1ELi128ELi1EEEENSS_IJLi1ELi2ELi0ELi3EEEES1V_NSS_IJLi4ELi1ELi1ELi1EEEES1V_NSS_IJLi1ELi1ELi1ELi1EEEES1T_S1U_S1V_S1V_S1W_S1V_S1X_NSS_IJLi0ELi1ELi2ELi3ELi4ELi5EEEELi5ELi4EEEfNS5_IJPKfEEEfS8_S8_S9_NSB_INS5_IJSE_SG_SI_SG_SG_SK_SG_SM_SM_SO_SO_SQ_SG_SG_NSP_INS5_IJiNS_17integral_constantIiLi128EEEEEELb0EEENSF_INS23_IiLi1EEEEEEEENS5_IJST_SU_SV_SW_SX_SY_SZ_S10_S11_S12_S13_S14_S15_NSS_IJLi15EEEES1C_NSS_IJLi16EEEEEEENS5_IJS17_SX_SY_SZ_S18_S19_S1A_S12_S13_S15_S14_S1B_S1C_NSS_IJLi18EEEENSS_IJLi19ELi20EEEENSS_IJLi21EEEEEEENSS_IJLi18ELi19ELi20ELi21EEEElEENSB_INS5_IJSQ_SO_SO_SQ_SG_SG_S26_S28_EEENS5_IJST_SU_SV_SX_SW_SY_S18_SZ_EEENS5_IJS1I_SW_SX_S1J_S18_NSS_IJLi8EEEENSS_IJLi9ELi10EEEES12_EEENSS_IJLi8ELi9ELi10ELi11EEEElEENS5_IJNSB_INS5_IJSK_SO_SO_NSP_INS5_IJiNS23_IiLi2EEENS23_IiLi64EEEEEELb0EEES2T_EEENS5_IJST_SU_SV_SW_SX_EEENS5_IJS1I_SW_SX_NSS_IJLi5ELi6ELi7EEEENSS_IJLi8ELi9ELi10EEEEEEENSS_IJLi5ELi6ELi7ELi8ELi9ELi10EEEElEEEEES30_NS_31BlockToCTileMap_M00_N00_M01_N01ILi128ELi128ES1R_Lb0EEENS1_30ComputePtrOffsetOfStridedBatchILi1ELi1ELi1EvEELb0ELb1EEEvPKT0_S38_T1_PT2_T3_T4_T5_iT6_T7_T8_T9_T10_T11_
                                        ; -- End function
	.section	.AMDGPU.csdata,"",@progbits
; Kernel info:
; codeLenInByte = 22176
; NumSgprs: 66
; NumVgprs: 105
; NumAgprs: 0
; TotalNumVgprs: 105
; ScratchSize: 0
; MemoryBound: 0
; FloatMode: 240
; IeeeMode: 1
; LDSByteSize: 32768 bytes/workgroup (compile time only)
; SGPRBlocks: 8
; VGPRBlocks: 13
; NumSGPRsForWavesPerEU: 66
; NumVGPRsForWavesPerEU: 105
; AccumOffset: 108
; Occupancy: 2
; WaveLimiterHint : 0
; COMPUTE_PGM_RSRC2:SCRATCH_EN: 0
; COMPUTE_PGM_RSRC2:USER_SGPR: 6
; COMPUTE_PGM_RSRC2:TRAP_HANDLER: 0
; COMPUTE_PGM_RSRC2:TGID_X_EN: 1
; COMPUTE_PGM_RSRC2:TGID_Y_EN: 0
; COMPUTE_PGM_RSRC2:TGID_Z_EN: 0
; COMPUTE_PGM_RSRC2:TIDIG_COMP_CNT: 0
; COMPUTE_PGM_RSRC3_GFX90A:ACCUM_OFFSET: 26
; COMPUTE_PGM_RSRC3_GFX90A:TG_SPLIT: 0
	.section	.text._ZN2ck16tensor_operation6device12_GLOBAL__N_137kernel_grouped_conv_fwd_dl_multiple_dINS_32GridwiseGemmDlMultipleD_km_kn_mnILi256EffNS_5TupleIJfEEEfNS0_12element_wise11PassThroughES8_NS7_7AddReluELNS_25InMemoryDataOperationEnumE0ENS_16TensorDescriptorINS5_IJNS_5EmbedINS5_IJiiiEEESD_Lb0EEENS_11PassThroughIiEENS_3PadIiiiLb0EEESG_SG_NSC_INS5_IJiiEEESJ_Lb0EEESG_NS_23Merge_v2_magic_divisionISJ_EESM_NS_8RightPadIiiLb0EEESO_NS_7UnMergeISJ_Lb0EEESG_EEENS5_IJNS_8SequenceIJLi0EEEENSS_IJLi1EEEENSS_IJLi2EEEENSS_IJLi3EEEENSS_IJLi4EEEENSS_IJLi5EEEENSS_IJLi6EEEENSS_IJLi7ELi9EEEENSS_IJLi8ELi10EEEENSS_IJLi11EEEENSS_IJLi12EEEENSS_IJLi14EEEENSS_IJLi13EEEEEEENS5_IJNSS_IJLi1ELi2ELi3EEEESX_SY_SZ_NSS_IJLi7EEEENSS_IJLi8ELi9EEEENSS_IJLi10EEEES12_S13_S15_S14_NSS_IJLi15ELi16EEEENSS_IJLi17EEEEEEENSS_IJLi15ELi17ELi16EEEElEENSB_INS5_IJSQ_SO_SO_SQ_SG_EEENS5_IJST_SU_SV_SX_SW_EEENS5_IJNSS_IJLi1ELi2EEEESW_SX_NSS_IJLi5ELi6EEEES18_EEENSS_IJLi5ELi7ELi6EEEElEENSB_INS5_IJSK_SO_SO_EEENS5_IJST_SU_SV_EEENS5_IJS1I_SW_SX_EEENSS_IJLi3ELi4EEEElEELi128ELi128ELi16ELi1ELi4ELi4ELi1ENSS_IJLi8ELi2EEEES1S_NSS_IJLi8ELi1ELi1ELi1EEEENSS_IJLi2ELi1ELi128ELi1EEEENSS_IJLi1ELi2ELi0ELi3EEEES1V_NSS_IJLi4ELi1ELi1ELi1EEEES1V_NSS_IJLi1ELi1ELi1ELi1EEEES1T_S1U_S1V_S1V_S1W_S1V_S1X_NSS_IJLi0ELi1ELi2ELi3ELi4ELi5EEEELi5ELi4EEEfNS5_IJPKfEEEfS8_S8_S9_NSB_INS5_IJSE_SG_SI_SG_SG_SK_SG_SM_SM_SO_SO_SQ_SG_SG_NSP_INS5_IJiNS_17integral_constantIiLi128EEEEEELb0EEENSF_INS23_IiLi1EEEEEEEENS5_IJST_SU_SV_SW_SX_SY_SZ_S10_S11_S12_S13_S14_S15_NSS_IJLi15EEEES1C_NSS_IJLi16EEEEEEENS5_IJS17_SX_SY_SZ_S18_S19_S1A_S12_S13_S15_S14_S1B_S1C_NSS_IJLi18EEEENSS_IJLi19ELi20EEEENSS_IJLi21EEEEEEENSS_IJLi18ELi19ELi20ELi21EEEElEENSB_INS5_IJSQ_SO_SO_SQ_SG_SG_S26_S28_EEENS5_IJST_SU_SV_SX_SW_SY_S18_SZ_EEENS5_IJS1I_SW_SX_S1J_S18_NSS_IJLi8EEEENSS_IJLi9ELi10EEEES12_EEENSS_IJLi8ELi9ELi10ELi11EEEElEENS5_IJNSB_INS5_IJSK_SO_SO_NSP_INS5_IJiNS23_IiLi2EEENS23_IiLi64EEEEEELb0EEES2T_EEENS5_IJST_SU_SV_SW_SX_EEENS5_IJS1I_SW_SX_NSS_IJLi5ELi6ELi7EEEENSS_IJLi8ELi9ELi10EEEEEEENSS_IJLi5ELi6ELi7ELi8ELi9ELi10EEEElEEEEES30_NS_31BlockToCTileMap_M00_N00_M01_N01ILi128ELi128ES1R_Lb0EEENS1_30ComputePtrOffsetOfStridedBatchILi1ELi1ELi1EvEELb0ELb0EEEvPKT0_S38_T1_PT2_T3_T4_T5_iT6_T7_T8_T9_T10_T11_,"axG",@progbits,_ZN2ck16tensor_operation6device12_GLOBAL__N_137kernel_grouped_conv_fwd_dl_multiple_dINS_32GridwiseGemmDlMultipleD_km_kn_mnILi256EffNS_5TupleIJfEEEfNS0_12element_wise11PassThroughES8_NS7_7AddReluELNS_25InMemoryDataOperationEnumE0ENS_16TensorDescriptorINS5_IJNS_5EmbedINS5_IJiiiEEESD_Lb0EEENS_11PassThroughIiEENS_3PadIiiiLb0EEESG_SG_NSC_INS5_IJiiEEESJ_Lb0EEESG_NS_23Merge_v2_magic_divisionISJ_EESM_NS_8RightPadIiiLb0EEESO_NS_7UnMergeISJ_Lb0EEESG_EEENS5_IJNS_8SequenceIJLi0EEEENSS_IJLi1EEEENSS_IJLi2EEEENSS_IJLi3EEEENSS_IJLi4EEEENSS_IJLi5EEEENSS_IJLi6EEEENSS_IJLi7ELi9EEEENSS_IJLi8ELi10EEEENSS_IJLi11EEEENSS_IJLi12EEEENSS_IJLi14EEEENSS_IJLi13EEEEEEENS5_IJNSS_IJLi1ELi2ELi3EEEESX_SY_SZ_NSS_IJLi7EEEENSS_IJLi8ELi9EEEENSS_IJLi10EEEES12_S13_S15_S14_NSS_IJLi15ELi16EEEENSS_IJLi17EEEEEEENSS_IJLi15ELi17ELi16EEEElEENSB_INS5_IJSQ_SO_SO_SQ_SG_EEENS5_IJST_SU_SV_SX_SW_EEENS5_IJNSS_IJLi1ELi2EEEESW_SX_NSS_IJLi5ELi6EEEES18_EEENSS_IJLi5ELi7ELi6EEEElEENSB_INS5_IJSK_SO_SO_EEENS5_IJST_SU_SV_EEENS5_IJS1I_SW_SX_EEENSS_IJLi3ELi4EEEElEELi128ELi128ELi16ELi1ELi4ELi4ELi1ENSS_IJLi8ELi2EEEES1S_NSS_IJLi8ELi1ELi1ELi1EEEENSS_IJLi2ELi1ELi128ELi1EEEENSS_IJLi1ELi2ELi0ELi3EEEES1V_NSS_IJLi4ELi1ELi1ELi1EEEES1V_NSS_IJLi1ELi1ELi1ELi1EEEES1T_S1U_S1V_S1V_S1W_S1V_S1X_NSS_IJLi0ELi1ELi2ELi3ELi4ELi5EEEELi5ELi4EEEfNS5_IJPKfEEEfS8_S8_S9_NSB_INS5_IJSE_SG_SI_SG_SG_SK_SG_SM_SM_SO_SO_SQ_SG_SG_NSP_INS5_IJiNS_17integral_constantIiLi128EEEEEELb0EEENSF_INS23_IiLi1EEEEEEEENS5_IJST_SU_SV_SW_SX_SY_SZ_S10_S11_S12_S13_S14_S15_NSS_IJLi15EEEES1C_NSS_IJLi16EEEEEEENS5_IJS17_SX_SY_SZ_S18_S19_S1A_S12_S13_S15_S14_S1B_S1C_NSS_IJLi18EEEENSS_IJLi19ELi20EEEENSS_IJLi21EEEEEEENSS_IJLi18ELi19ELi20ELi21EEEElEENSB_INS5_IJSQ_SO_SO_SQ_SG_SG_S26_S28_EEENS5_IJST_SU_SV_SX_SW_SY_S18_SZ_EEENS5_IJS1I_SW_SX_S1J_S18_NSS_IJLi8EEEENSS_IJLi9ELi10EEEES12_EEENSS_IJLi8ELi9ELi10ELi11EEEElEENS5_IJNSB_INS5_IJSK_SO_SO_NSP_INS5_IJiNS23_IiLi2EEENS23_IiLi64EEEEEELb0EEES2T_EEENS5_IJST_SU_SV_SW_SX_EEENS5_IJS1I_SW_SX_NSS_IJLi5ELi6ELi7EEEENSS_IJLi8ELi9ELi10EEEEEEENSS_IJLi5ELi6ELi7ELi8ELi9ELi10EEEElEEEEES30_NS_31BlockToCTileMap_M00_N00_M01_N01ILi128ELi128ES1R_Lb0EEENS1_30ComputePtrOffsetOfStridedBatchILi1ELi1ELi1EvEELb0ELb0EEEvPKT0_S38_T1_PT2_T3_T4_T5_iT6_T7_T8_T9_T10_T11_,comdat
	.globl	_ZN2ck16tensor_operation6device12_GLOBAL__N_137kernel_grouped_conv_fwd_dl_multiple_dINS_32GridwiseGemmDlMultipleD_km_kn_mnILi256EffNS_5TupleIJfEEEfNS0_12element_wise11PassThroughES8_NS7_7AddReluELNS_25InMemoryDataOperationEnumE0ENS_16TensorDescriptorINS5_IJNS_5EmbedINS5_IJiiiEEESD_Lb0EEENS_11PassThroughIiEENS_3PadIiiiLb0EEESG_SG_NSC_INS5_IJiiEEESJ_Lb0EEESG_NS_23Merge_v2_magic_divisionISJ_EESM_NS_8RightPadIiiLb0EEESO_NS_7UnMergeISJ_Lb0EEESG_EEENS5_IJNS_8SequenceIJLi0EEEENSS_IJLi1EEEENSS_IJLi2EEEENSS_IJLi3EEEENSS_IJLi4EEEENSS_IJLi5EEEENSS_IJLi6EEEENSS_IJLi7ELi9EEEENSS_IJLi8ELi10EEEENSS_IJLi11EEEENSS_IJLi12EEEENSS_IJLi14EEEENSS_IJLi13EEEEEEENS5_IJNSS_IJLi1ELi2ELi3EEEESX_SY_SZ_NSS_IJLi7EEEENSS_IJLi8ELi9EEEENSS_IJLi10EEEES12_S13_S15_S14_NSS_IJLi15ELi16EEEENSS_IJLi17EEEEEEENSS_IJLi15ELi17ELi16EEEElEENSB_INS5_IJSQ_SO_SO_SQ_SG_EEENS5_IJST_SU_SV_SX_SW_EEENS5_IJNSS_IJLi1ELi2EEEESW_SX_NSS_IJLi5ELi6EEEES18_EEENSS_IJLi5ELi7ELi6EEEElEENSB_INS5_IJSK_SO_SO_EEENS5_IJST_SU_SV_EEENS5_IJS1I_SW_SX_EEENSS_IJLi3ELi4EEEElEELi128ELi128ELi16ELi1ELi4ELi4ELi1ENSS_IJLi8ELi2EEEES1S_NSS_IJLi8ELi1ELi1ELi1EEEENSS_IJLi2ELi1ELi128ELi1EEEENSS_IJLi1ELi2ELi0ELi3EEEES1V_NSS_IJLi4ELi1ELi1ELi1EEEES1V_NSS_IJLi1ELi1ELi1ELi1EEEES1T_S1U_S1V_S1V_S1W_S1V_S1X_NSS_IJLi0ELi1ELi2ELi3ELi4ELi5EEEELi5ELi4EEEfNS5_IJPKfEEEfS8_S8_S9_NSB_INS5_IJSE_SG_SI_SG_SG_SK_SG_SM_SM_SO_SO_SQ_SG_SG_NSP_INS5_IJiNS_17integral_constantIiLi128EEEEEELb0EEENSF_INS23_IiLi1EEEEEEEENS5_IJST_SU_SV_SW_SX_SY_SZ_S10_S11_S12_S13_S14_S15_NSS_IJLi15EEEES1C_NSS_IJLi16EEEEEEENS5_IJS17_SX_SY_SZ_S18_S19_S1A_S12_S13_S15_S14_S1B_S1C_NSS_IJLi18EEEENSS_IJLi19ELi20EEEENSS_IJLi21EEEEEEENSS_IJLi18ELi19ELi20ELi21EEEElEENSB_INS5_IJSQ_SO_SO_SQ_SG_SG_S26_S28_EEENS5_IJST_SU_SV_SX_SW_SY_S18_SZ_EEENS5_IJS1I_SW_SX_S1J_S18_NSS_IJLi8EEEENSS_IJLi9ELi10EEEES12_EEENSS_IJLi8ELi9ELi10ELi11EEEElEENS5_IJNSB_INS5_IJSK_SO_SO_NSP_INS5_IJiNS23_IiLi2EEENS23_IiLi64EEEEEELb0EEES2T_EEENS5_IJST_SU_SV_SW_SX_EEENS5_IJS1I_SW_SX_NSS_IJLi5ELi6ELi7EEEENSS_IJLi8ELi9ELi10EEEEEEENSS_IJLi5ELi6ELi7ELi8ELi9ELi10EEEElEEEEES30_NS_31BlockToCTileMap_M00_N00_M01_N01ILi128ELi128ES1R_Lb0EEENS1_30ComputePtrOffsetOfStridedBatchILi1ELi1ELi1EvEELb0ELb0EEEvPKT0_S38_T1_PT2_T3_T4_T5_iT6_T7_T8_T9_T10_T11_ ; -- Begin function _ZN2ck16tensor_operation6device12_GLOBAL__N_137kernel_grouped_conv_fwd_dl_multiple_dINS_32GridwiseGemmDlMultipleD_km_kn_mnILi256EffNS_5TupleIJfEEEfNS0_12element_wise11PassThroughES8_NS7_7AddReluELNS_25InMemoryDataOperationEnumE0ENS_16TensorDescriptorINS5_IJNS_5EmbedINS5_IJiiiEEESD_Lb0EEENS_11PassThroughIiEENS_3PadIiiiLb0EEESG_SG_NSC_INS5_IJiiEEESJ_Lb0EEESG_NS_23Merge_v2_magic_divisionISJ_EESM_NS_8RightPadIiiLb0EEESO_NS_7UnMergeISJ_Lb0EEESG_EEENS5_IJNS_8SequenceIJLi0EEEENSS_IJLi1EEEENSS_IJLi2EEEENSS_IJLi3EEEENSS_IJLi4EEEENSS_IJLi5EEEENSS_IJLi6EEEENSS_IJLi7ELi9EEEENSS_IJLi8ELi10EEEENSS_IJLi11EEEENSS_IJLi12EEEENSS_IJLi14EEEENSS_IJLi13EEEEEEENS5_IJNSS_IJLi1ELi2ELi3EEEESX_SY_SZ_NSS_IJLi7EEEENSS_IJLi8ELi9EEEENSS_IJLi10EEEES12_S13_S15_S14_NSS_IJLi15ELi16EEEENSS_IJLi17EEEEEEENSS_IJLi15ELi17ELi16EEEElEENSB_INS5_IJSQ_SO_SO_SQ_SG_EEENS5_IJST_SU_SV_SX_SW_EEENS5_IJNSS_IJLi1ELi2EEEESW_SX_NSS_IJLi5ELi6EEEES18_EEENSS_IJLi5ELi7ELi6EEEElEENSB_INS5_IJSK_SO_SO_EEENS5_IJST_SU_SV_EEENS5_IJS1I_SW_SX_EEENSS_IJLi3ELi4EEEElEELi128ELi128ELi16ELi1ELi4ELi4ELi1ENSS_IJLi8ELi2EEEES1S_NSS_IJLi8ELi1ELi1ELi1EEEENSS_IJLi2ELi1ELi128ELi1EEEENSS_IJLi1ELi2ELi0ELi3EEEES1V_NSS_IJLi4ELi1ELi1ELi1EEEES1V_NSS_IJLi1ELi1ELi1ELi1EEEES1T_S1U_S1V_S1V_S1W_S1V_S1X_NSS_IJLi0ELi1ELi2ELi3ELi4ELi5EEEELi5ELi4EEEfNS5_IJPKfEEEfS8_S8_S9_NSB_INS5_IJSE_SG_SI_SG_SG_SK_SG_SM_SM_SO_SO_SQ_SG_SG_NSP_INS5_IJiNS_17integral_constantIiLi128EEEEEELb0EEENSF_INS23_IiLi1EEEEEEEENS5_IJST_SU_SV_SW_SX_SY_SZ_S10_S11_S12_S13_S14_S15_NSS_IJLi15EEEES1C_NSS_IJLi16EEEEEEENS5_IJS17_SX_SY_SZ_S18_S19_S1A_S12_S13_S15_S14_S1B_S1C_NSS_IJLi18EEEENSS_IJLi19ELi20EEEENSS_IJLi21EEEEEEENSS_IJLi18ELi19ELi20ELi21EEEElEENSB_INS5_IJSQ_SO_SO_SQ_SG_SG_S26_S28_EEENS5_IJST_SU_SV_SX_SW_SY_S18_SZ_EEENS5_IJS1I_SW_SX_S1J_S18_NSS_IJLi8EEEENSS_IJLi9ELi10EEEES12_EEENSS_IJLi8ELi9ELi10ELi11EEEElEENS5_IJNSB_INS5_IJSK_SO_SO_NSP_INS5_IJiNS23_IiLi2EEENS23_IiLi64EEEEEELb0EEES2T_EEENS5_IJST_SU_SV_SW_SX_EEENS5_IJS1I_SW_SX_NSS_IJLi5ELi6ELi7EEEENSS_IJLi8ELi9ELi10EEEEEEENSS_IJLi5ELi6ELi7ELi8ELi9ELi10EEEElEEEEES30_NS_31BlockToCTileMap_M00_N00_M01_N01ILi128ELi128ES1R_Lb0EEENS1_30ComputePtrOffsetOfStridedBatchILi1ELi1ELi1EvEELb0ELb0EEEvPKT0_S38_T1_PT2_T3_T4_T5_iT6_T7_T8_T9_T10_T11_
	.p2align	8
	.type	_ZN2ck16tensor_operation6device12_GLOBAL__N_137kernel_grouped_conv_fwd_dl_multiple_dINS_32GridwiseGemmDlMultipleD_km_kn_mnILi256EffNS_5TupleIJfEEEfNS0_12element_wise11PassThroughES8_NS7_7AddReluELNS_25InMemoryDataOperationEnumE0ENS_16TensorDescriptorINS5_IJNS_5EmbedINS5_IJiiiEEESD_Lb0EEENS_11PassThroughIiEENS_3PadIiiiLb0EEESG_SG_NSC_INS5_IJiiEEESJ_Lb0EEESG_NS_23Merge_v2_magic_divisionISJ_EESM_NS_8RightPadIiiLb0EEESO_NS_7UnMergeISJ_Lb0EEESG_EEENS5_IJNS_8SequenceIJLi0EEEENSS_IJLi1EEEENSS_IJLi2EEEENSS_IJLi3EEEENSS_IJLi4EEEENSS_IJLi5EEEENSS_IJLi6EEEENSS_IJLi7ELi9EEEENSS_IJLi8ELi10EEEENSS_IJLi11EEEENSS_IJLi12EEEENSS_IJLi14EEEENSS_IJLi13EEEEEEENS5_IJNSS_IJLi1ELi2ELi3EEEESX_SY_SZ_NSS_IJLi7EEEENSS_IJLi8ELi9EEEENSS_IJLi10EEEES12_S13_S15_S14_NSS_IJLi15ELi16EEEENSS_IJLi17EEEEEEENSS_IJLi15ELi17ELi16EEEElEENSB_INS5_IJSQ_SO_SO_SQ_SG_EEENS5_IJST_SU_SV_SX_SW_EEENS5_IJNSS_IJLi1ELi2EEEESW_SX_NSS_IJLi5ELi6EEEES18_EEENSS_IJLi5ELi7ELi6EEEElEENSB_INS5_IJSK_SO_SO_EEENS5_IJST_SU_SV_EEENS5_IJS1I_SW_SX_EEENSS_IJLi3ELi4EEEElEELi128ELi128ELi16ELi1ELi4ELi4ELi1ENSS_IJLi8ELi2EEEES1S_NSS_IJLi8ELi1ELi1ELi1EEEENSS_IJLi2ELi1ELi128ELi1EEEENSS_IJLi1ELi2ELi0ELi3EEEES1V_NSS_IJLi4ELi1ELi1ELi1EEEES1V_NSS_IJLi1ELi1ELi1ELi1EEEES1T_S1U_S1V_S1V_S1W_S1V_S1X_NSS_IJLi0ELi1ELi2ELi3ELi4ELi5EEEELi5ELi4EEEfNS5_IJPKfEEEfS8_S8_S9_NSB_INS5_IJSE_SG_SI_SG_SG_SK_SG_SM_SM_SO_SO_SQ_SG_SG_NSP_INS5_IJiNS_17integral_constantIiLi128EEEEEELb0EEENSF_INS23_IiLi1EEEEEEEENS5_IJST_SU_SV_SW_SX_SY_SZ_S10_S11_S12_S13_S14_S15_NSS_IJLi15EEEES1C_NSS_IJLi16EEEEEEENS5_IJS17_SX_SY_SZ_S18_S19_S1A_S12_S13_S15_S14_S1B_S1C_NSS_IJLi18EEEENSS_IJLi19ELi20EEEENSS_IJLi21EEEEEEENSS_IJLi18ELi19ELi20ELi21EEEElEENSB_INS5_IJSQ_SO_SO_SQ_SG_SG_S26_S28_EEENS5_IJST_SU_SV_SX_SW_SY_S18_SZ_EEENS5_IJS1I_SW_SX_S1J_S18_NSS_IJLi8EEEENSS_IJLi9ELi10EEEES12_EEENSS_IJLi8ELi9ELi10ELi11EEEElEENS5_IJNSB_INS5_IJSK_SO_SO_NSP_INS5_IJiNS23_IiLi2EEENS23_IiLi64EEEEEELb0EEES2T_EEENS5_IJST_SU_SV_SW_SX_EEENS5_IJS1I_SW_SX_NSS_IJLi5ELi6ELi7EEEENSS_IJLi8ELi9ELi10EEEEEEENSS_IJLi5ELi6ELi7ELi8ELi9ELi10EEEElEEEEES30_NS_31BlockToCTileMap_M00_N00_M01_N01ILi128ELi128ES1R_Lb0EEENS1_30ComputePtrOffsetOfStridedBatchILi1ELi1ELi1EvEELb0ELb0EEEvPKT0_S38_T1_PT2_T3_T4_T5_iT6_T7_T8_T9_T10_T11_,@function
_ZN2ck16tensor_operation6device12_GLOBAL__N_137kernel_grouped_conv_fwd_dl_multiple_dINS_32GridwiseGemmDlMultipleD_km_kn_mnILi256EffNS_5TupleIJfEEEfNS0_12element_wise11PassThroughES8_NS7_7AddReluELNS_25InMemoryDataOperationEnumE0ENS_16TensorDescriptorINS5_IJNS_5EmbedINS5_IJiiiEEESD_Lb0EEENS_11PassThroughIiEENS_3PadIiiiLb0EEESG_SG_NSC_INS5_IJiiEEESJ_Lb0EEESG_NS_23Merge_v2_magic_divisionISJ_EESM_NS_8RightPadIiiLb0EEESO_NS_7UnMergeISJ_Lb0EEESG_EEENS5_IJNS_8SequenceIJLi0EEEENSS_IJLi1EEEENSS_IJLi2EEEENSS_IJLi3EEEENSS_IJLi4EEEENSS_IJLi5EEEENSS_IJLi6EEEENSS_IJLi7ELi9EEEENSS_IJLi8ELi10EEEENSS_IJLi11EEEENSS_IJLi12EEEENSS_IJLi14EEEENSS_IJLi13EEEEEEENS5_IJNSS_IJLi1ELi2ELi3EEEESX_SY_SZ_NSS_IJLi7EEEENSS_IJLi8ELi9EEEENSS_IJLi10EEEES12_S13_S15_S14_NSS_IJLi15ELi16EEEENSS_IJLi17EEEEEEENSS_IJLi15ELi17ELi16EEEElEENSB_INS5_IJSQ_SO_SO_SQ_SG_EEENS5_IJST_SU_SV_SX_SW_EEENS5_IJNSS_IJLi1ELi2EEEESW_SX_NSS_IJLi5ELi6EEEES18_EEENSS_IJLi5ELi7ELi6EEEElEENSB_INS5_IJSK_SO_SO_EEENS5_IJST_SU_SV_EEENS5_IJS1I_SW_SX_EEENSS_IJLi3ELi4EEEElEELi128ELi128ELi16ELi1ELi4ELi4ELi1ENSS_IJLi8ELi2EEEES1S_NSS_IJLi8ELi1ELi1ELi1EEEENSS_IJLi2ELi1ELi128ELi1EEEENSS_IJLi1ELi2ELi0ELi3EEEES1V_NSS_IJLi4ELi1ELi1ELi1EEEES1V_NSS_IJLi1ELi1ELi1ELi1EEEES1T_S1U_S1V_S1V_S1W_S1V_S1X_NSS_IJLi0ELi1ELi2ELi3ELi4ELi5EEEELi5ELi4EEEfNS5_IJPKfEEEfS8_S8_S9_NSB_INS5_IJSE_SG_SI_SG_SG_SK_SG_SM_SM_SO_SO_SQ_SG_SG_NSP_INS5_IJiNS_17integral_constantIiLi128EEEEEELb0EEENSF_INS23_IiLi1EEEEEEEENS5_IJST_SU_SV_SW_SX_SY_SZ_S10_S11_S12_S13_S14_S15_NSS_IJLi15EEEES1C_NSS_IJLi16EEEEEEENS5_IJS17_SX_SY_SZ_S18_S19_S1A_S12_S13_S15_S14_S1B_S1C_NSS_IJLi18EEEENSS_IJLi19ELi20EEEENSS_IJLi21EEEEEEENSS_IJLi18ELi19ELi20ELi21EEEElEENSB_INS5_IJSQ_SO_SO_SQ_SG_SG_S26_S28_EEENS5_IJST_SU_SV_SX_SW_SY_S18_SZ_EEENS5_IJS1I_SW_SX_S1J_S18_NSS_IJLi8EEEENSS_IJLi9ELi10EEEES12_EEENSS_IJLi8ELi9ELi10ELi11EEEElEENS5_IJNSB_INS5_IJSK_SO_SO_NSP_INS5_IJiNS23_IiLi2EEENS23_IiLi64EEEEEELb0EEES2T_EEENS5_IJST_SU_SV_SW_SX_EEENS5_IJS1I_SW_SX_NSS_IJLi5ELi6ELi7EEEENSS_IJLi8ELi9ELi10EEEEEEENSS_IJLi5ELi6ELi7ELi8ELi9ELi10EEEElEEEEES30_NS_31BlockToCTileMap_M00_N00_M01_N01ILi128ELi128ES1R_Lb0EEENS1_30ComputePtrOffsetOfStridedBatchILi1ELi1ELi1EvEELb0ELb0EEEvPKT0_S38_T1_PT2_T3_T4_T5_iT6_T7_T8_T9_T10_T11_: ; @_ZN2ck16tensor_operation6device12_GLOBAL__N_137kernel_grouped_conv_fwd_dl_multiple_dINS_32GridwiseGemmDlMultipleD_km_kn_mnILi256EffNS_5TupleIJfEEEfNS0_12element_wise11PassThroughES8_NS7_7AddReluELNS_25InMemoryDataOperationEnumE0ENS_16TensorDescriptorINS5_IJNS_5EmbedINS5_IJiiiEEESD_Lb0EEENS_11PassThroughIiEENS_3PadIiiiLb0EEESG_SG_NSC_INS5_IJiiEEESJ_Lb0EEESG_NS_23Merge_v2_magic_divisionISJ_EESM_NS_8RightPadIiiLb0EEESO_NS_7UnMergeISJ_Lb0EEESG_EEENS5_IJNS_8SequenceIJLi0EEEENSS_IJLi1EEEENSS_IJLi2EEEENSS_IJLi3EEEENSS_IJLi4EEEENSS_IJLi5EEEENSS_IJLi6EEEENSS_IJLi7ELi9EEEENSS_IJLi8ELi10EEEENSS_IJLi11EEEENSS_IJLi12EEEENSS_IJLi14EEEENSS_IJLi13EEEEEEENS5_IJNSS_IJLi1ELi2ELi3EEEESX_SY_SZ_NSS_IJLi7EEEENSS_IJLi8ELi9EEEENSS_IJLi10EEEES12_S13_S15_S14_NSS_IJLi15ELi16EEEENSS_IJLi17EEEEEEENSS_IJLi15ELi17ELi16EEEElEENSB_INS5_IJSQ_SO_SO_SQ_SG_EEENS5_IJST_SU_SV_SX_SW_EEENS5_IJNSS_IJLi1ELi2EEEESW_SX_NSS_IJLi5ELi6EEEES18_EEENSS_IJLi5ELi7ELi6EEEElEENSB_INS5_IJSK_SO_SO_EEENS5_IJST_SU_SV_EEENS5_IJS1I_SW_SX_EEENSS_IJLi3ELi4EEEElEELi128ELi128ELi16ELi1ELi4ELi4ELi1ENSS_IJLi8ELi2EEEES1S_NSS_IJLi8ELi1ELi1ELi1EEEENSS_IJLi2ELi1ELi128ELi1EEEENSS_IJLi1ELi2ELi0ELi3EEEES1V_NSS_IJLi4ELi1ELi1ELi1EEEES1V_NSS_IJLi1ELi1ELi1ELi1EEEES1T_S1U_S1V_S1V_S1W_S1V_S1X_NSS_IJLi0ELi1ELi2ELi3ELi4ELi5EEEELi5ELi4EEEfNS5_IJPKfEEEfS8_S8_S9_NSB_INS5_IJSE_SG_SI_SG_SG_SK_SG_SM_SM_SO_SO_SQ_SG_SG_NSP_INS5_IJiNS_17integral_constantIiLi128EEEEEELb0EEENSF_INS23_IiLi1EEEEEEEENS5_IJST_SU_SV_SW_SX_SY_SZ_S10_S11_S12_S13_S14_S15_NSS_IJLi15EEEES1C_NSS_IJLi16EEEEEEENS5_IJS17_SX_SY_SZ_S18_S19_S1A_S12_S13_S15_S14_S1B_S1C_NSS_IJLi18EEEENSS_IJLi19ELi20EEEENSS_IJLi21EEEEEEENSS_IJLi18ELi19ELi20ELi21EEEElEENSB_INS5_IJSQ_SO_SO_SQ_SG_SG_S26_S28_EEENS5_IJST_SU_SV_SX_SW_SY_S18_SZ_EEENS5_IJS1I_SW_SX_S1J_S18_NSS_IJLi8EEEENSS_IJLi9ELi10EEEES12_EEENSS_IJLi8ELi9ELi10ELi11EEEElEENS5_IJNSB_INS5_IJSK_SO_SO_NSP_INS5_IJiNS23_IiLi2EEENS23_IiLi64EEEEEELb0EEES2T_EEENS5_IJST_SU_SV_SW_SX_EEENS5_IJS1I_SW_SX_NSS_IJLi5ELi6ELi7EEEENSS_IJLi8ELi9ELi10EEEEEEENSS_IJLi5ELi6ELi7ELi8ELi9ELi10EEEElEEEEES30_NS_31BlockToCTileMap_M00_N00_M01_N01ILi128ELi128ES1R_Lb0EEENS1_30ComputePtrOffsetOfStridedBatchILi1ELi1ELi1EvEELb0ELb0EEEvPKT0_S38_T1_PT2_T3_T4_T5_iT6_T7_T8_T9_T10_T11_
; %bb.0:
	s_load_dword s0, s[4:5], 0x24
	s_load_dwordx8 s[16:23], s[4:5], 0x0
	s_load_dwordx8 s[8:15], s[4:5], 0x34
	s_load_dwordx2 s[2:3], s[4:5], 0x60
	s_load_dword s52, s[4:5], 0x70
	s_load_dword s53, s[4:5], 0x78
	;; [unrolled: 1-line block ×7, first 2 shown]
	s_waitcnt lgkmcnt(0)
	s_load_dword s15, s[4:5], 0x288
	s_load_dword s55, s[4:5], 0xc4
	s_load_dword s56, s[4:5], 0xe8
	s_load_dword s48, s[4:5], 0xf8
	s_load_dword s34, s[4:5], 0x104
	s_load_dword s33, s[4:5], 0x110
	s_load_dword s11, s[4:5], 0x120
	s_load_dword s35, s[4:5], 0x148
	s_abs_i32 s1, s0
	v_cvt_f32_u32_e32 v1, s1
	s_sub_i32 s24, 0, s1
	s_waitcnt lgkmcnt(0)
	s_xor_b32 s0, s15, s0
	s_abs_i32 s15, s15
	v_rcp_iflag_f32_e32 v1, v1
	s_ashr_i32 s0, s0, 31
	v_lshlrev_b32_e32 v2, 3, v0
	v_and_b32_e32 v21, 8, v2
	v_mul_f32_e32 v1, 0x4f7ffffe, v1
	v_cvt_u32_f32_e32 v1, v1
	v_mul_lo_u32 v23, s55, v21
	v_mul_hi_u32 v2, v23, s51
	v_add_u32_e32 v2, v23, v2
	v_readfirstlane_b32 s25, v1
	s_mul_i32 s24, s24, s25
	s_mul_hi_u32 s24, s25, s24
	s_add_i32 s25, s25, s24
	s_mul_hi_u32 s24, s15, s25
	s_mul_i32 s25, s24, s1
	s_sub_i32 s15, s15, s25
	s_add_i32 s25, s24, 1
	s_sub_i32 s26, s15, s1
	s_cmp_ge_u32 s15, s1
	s_cselect_b32 s24, s25, s24
	s_cselect_b32 s15, s26, s15
	s_add_i32 s25, s24, 1
	s_cmp_ge_u32 s15, s1
	s_cselect_b32 s1, s25, s24
	s_xor_b32 s1, s1, s0
	s_sub_i32 s0, s1, s0
	s_abs_i32 s1, s0
	v_cvt_f32_u32_e32 v1, s1
	s_sub_i32 s59, 0, s1
	s_abs_i32 s58, s6
	s_xor_b32 s0, s6, s0
	v_rcp_iflag_f32_e32 v1, v1
	s_ashr_i32 s0, s0, 31
	s_load_dword s15, s[4:5], 0x204
	s_load_dword s57, s[4:5], 0x214
	s_load_dwordx4 s[36:39], s[4:5], 0x220
	s_load_dwordx4 s[40:43], s[4:5], 0x234
	;; [unrolled: 1-line block ×3, first 2 shown]
	s_load_dwordx8 s[24:31], s[4:5], 0x260
	v_mul_f32_e32 v1, 0x4f7ffffe, v1
	v_cvt_u32_f32_e32 v1, v1
	v_lshrrev_b32_e32 v8, s50, v2
	v_mul_lo_u32 v2, v8, s49
	v_sub_u32_e32 v6, v23, v2
	v_readfirstlane_b32 s60, v1
	s_mul_i32 s59, s59, s60
	s_mul_hi_u32 s59, s60, s59
	s_add_i32 s60, s60, s59
	s_mul_hi_u32 s59, s58, s60
	s_mul_i32 s60, s59, s1
	s_sub_i32 s58, s58, s60
	s_add_i32 s60, s59, 1
	s_sub_i32 s61, s58, s1
	s_cmp_ge_u32 s58, s1
	s_cselect_b32 s59, s60, s59
	s_cselect_b32 s58, s61, s58
	s_add_i32 s60, s59, 1
	s_cmp_ge_u32 s58, s1
	s_cselect_b32 s1, s60, s59
	s_xor_b32 s1, s1, s0
	s_sub_i32 s58, s1, s0
	s_ashr_i32 s59, s58, 31
	s_waitcnt lgkmcnt(0)
	s_mul_i32 s0, s24, s59
	s_mul_hi_u32 s1, s24, s58
	s_add_i32 s0, s1, s0
	s_mul_i32 s1, s25, s58
	s_add_i32 s1, s0, s1
	s_mul_i32 s0, s24, s58
	s_mul_i32 s24, s26, s59
	s_mul_hi_u32 s25, s26, s58
	s_add_i32 s24, s25, s24
	s_mul_i32 s25, s27, s58
	s_add_i32 s27, s24, s25
	s_mul_i32 s24, s30, s59
	s_mul_hi_u32 s25, s30, s58
	s_add_i32 s24, s25, s24
	s_mul_i32 s25, s31, s58
	s_add_i32 s31, s24, s25
	;; [unrolled: 5-line block ×3, first 2 shown]
	s_mul_i32 s24, s28, s58
	s_lshl_b64 s[24:25], s[24:25], 2
	s_add_u32 s24, s20, s24
	s_addc_u32 s25, s21, s25
	s_lshl_b64 s[0:1], s[0:1], 2
	s_mul_i32 s26, s26, s58
	s_add_u32 s20, s16, s0
	s_addc_u32 s21, s17, s1
	s_lshl_b64 s[0:1], s[26:27], 2
	s_mul_i32 s30, s30, s58
	s_add_u32 s0, s18, s0
	s_addc_u32 s1, s19, s1
	s_lshl_b64 s[16:17], s[30:31], 2
	s_add_u32 s16, s22, s16
	s_mul_hi_u32 s18, s43, s6
	s_addc_u32 s17, s23, s17
	s_add_i32 s18, s6, s18
	s_lshr_b32 s18, s18, s47
	s_mul_i32 s19, s18, s39
	s_sub_i32 s6, s6, s19
	s_mul_hi_u32 s19, s18, s42
	s_add_i32 s19, s18, s19
	s_lshr_b32 s19, s19, s46
	s_mul_i32 s22, s19, s38
	s_sub_i32 s18, s18, s22
	s_mul_hi_u32 s22, s19, s41
	;; [unrolled: 5-line block ×3, first 2 shown]
	s_add_i32 s23, s22, s23
	s_lshr_b32 s23, s23, s44
	s_mul_i32 s23, s23, s36
	s_sub_i32 s22, s22, s23
	s_mul_i32 s22, s22, s15
	s_add_i32 s18, s18, s22
	v_lshrrev_b32_e32 v1, 1, v0
	s_lshl_b32 s15, s18, 7
	v_or_b32_e32 v22, s15, v1
	v_mul_hi_u32 v2, v22, s53
	v_add_u32_e32 v2, v22, v2
	v_lshrrev_b32_e32 v3, s54, v2
	v_mul_lo_u32 v2, v3, s52
	s_mul_i32 s19, s19, s57
	v_sub_u32_e32 v4, v22, v2
	v_mul_lo_u32 v2, v8, s2
	s_add_i32 s6, s6, s19
	v_mad_u64_u32 v[18:19], s[18:19], v4, s3, v[2:3]
	v_subrev_u32_e32 v2, s13, v18
	v_mul_lo_u32 v3, v3, s8
	v_mul_lo_u32 v2, v2, s9
	;; [unrolled: 1-line block ×3, first 2 shown]
	v_lshl_add_u32 v24, s55, 2, v23
	v_add3_u32 v9, v3, v4, v2
	v_mul_hi_u32 v3, v24, s51
	v_add_u32_e32 v7, v24, v3
	v_lshrrev_b32_e32 v10, s50, v7
	s_lshl_b32 s22, s56, 2
	s_mov_b32 s23, 0x20000
	v_lshlrev_b32_e32 v2, 2, v9
	v_mad_u64_u32 v[6:7], s[26:27], v10, s49, v[6:7]
	buffer_load_dwordx4 v[2:5], v2, s[20:23], 0 offen
	v_sub_u32_e32 v7, v24, v6
	v_sub_u32_e32 v6, v10, v8
	v_mul_lo_u32 v25, v6, s2
	v_mul_lo_u32 v6, v25, s9
	s_lshl_b32 s18, s6, 7
	v_mad_u64_u32 v[6:7], s[2:3], v7, s10, v[6:7]
	v_or_b32_e32 v19, s18, v1
	v_add_lshl_u32 v6, v6, v9, 2
	buffer_load_dwordx4 v[6:9], v6, s[20:23], 0 offen
	v_mul_lo_u32 v20, s11, v21
	v_mad_u64_u32 v[14:15], s[2:3], v19, s48, v[20:21]
	s_lshl_b32 s2, s35, 2
	s_mov_b32 s3, s23
	v_lshlrev_b32_e32 v10, 2, v14
	s_lshl_b32 s20, s11, 2
	s_nop 0
	buffer_load_dwordx4 v[10:13], v10, s[0:3], 0 offen
	v_add_lshl_u32 v14, v14, s20, 2
	buffer_load_dwordx4 v[14:17], v14, s[0:3], 0 offen
	v_lshrrev_b32_e32 v26, 5, v0
	v_lshlrev_b32_e32 v28, 1, v0
	s_sub_i32 s12, s12, s14
	s_load_dword s21, s[4:5], 0xb4
	s_load_dwordx2 s[8:9], s[4:5], 0x158
	s_load_dword s10, s[4:5], 0x164
	s_load_dword s11, s[4:5], 0x170
	;; [unrolled: 1-line block ×3, first 2 shown]
	v_lshlrev_b32_e32 v27, 6, v26
	v_and_b32_e32 v29, 0x1f8, v28
	v_cmp_gt_i32_e64 s[0:1], s7, v22
	v_cmp_le_i32_e64 s[2:3], s13, v18
	v_cmp_gt_i32_e64 s[6:7], s12, v18
	v_sub_u32_e32 v27, v29, v27
	v_lshlrev_b32_e32 v0, 2, v0
	s_waitcnt lgkmcnt(0)
	v_cmp_gt_i32_e32 vcc, s21, v23
	s_and_b64 s[2:3], s[2:3], s[6:7]
	v_and_or_b32 v64, v0, 4, v27
	v_and_b32_e32 v0, 0x1fc, v28
	s_and_b64 s[2:3], vcc, s[2:3]
	v_sub_u32_e32 v0, v0, v29
	s_and_b64 vcc, s[0:1], s[2:3]
	v_lshl_add_u32 v65, v26, 3, v0
	v_lshlrev_b32_e32 v1, 2, v1
	v_lshl_or_b32 v1, v21, 9, v1
	v_lshlrev_b32_e32 v66, 2, v65
	v_lshlrev_b32_e32 v67, 2, v64
	v_mov_b32_e32 v26, 0
	v_mov_b32_e32 v27, 0
	;; [unrolled: 1-line block ×33, first 2 shown]
	v_add_u32_e32 v65, s15, v65
	v_add_u32_e32 v64, s18, v64
	s_lshl_b32 s26, s19, 2
	s_waitcnt vmcnt(3)
	v_cndmask_b32_e32 v0, 0, v5, vcc
	v_add_u32_e32 v5, v18, v25
	v_cmp_le_i32_e64 s[2:3], s13, v5
	v_cmp_gt_i32_e64 s[6:7], s12, v5
	v_cndmask_b32_e32 v4, 0, v4, vcc
	v_cndmask_b32_e32 v3, 0, v3, vcc
	;; [unrolled: 1-line block ×3, first 2 shown]
	v_cmp_gt_i32_e32 vcc, s21, v24
	s_and_b64 s[2:3], s[2:3], s[6:7]
	s_and_b64 s[2:3], vcc, s[2:3]
	s_and_b64 vcc, s[0:1], s[2:3]
	s_waitcnt vmcnt(2)
	v_cndmask_b32_e32 v5, 0, v9, vcc
	v_cndmask_b32_e32 v8, 0, v8, vcc
	;; [unrolled: 1-line block ×4, first 2 shown]
	v_cmp_gt_i32_e32 vcc, s33, v20
	v_cmp_gt_i32_e64 s[0:1], s34, v19
	s_and_b64 vcc, vcc, s[0:1]
	s_waitcnt vmcnt(1)
	v_cndmask_b32_e32 v9, 0, v13, vcc
	v_add_u32_e32 v13, s20, v20
	v_cndmask_b32_e32 v12, 0, v12, vcc
	v_cndmask_b32_e32 v11, 0, v11, vcc
	;; [unrolled: 1-line block ×3, first 2 shown]
	v_cmp_gt_i32_e32 vcc, s33, v13
	s_and_b64 vcc, vcc, s[0:1]
	s_waitcnt vmcnt(0)
	v_cndmask_b32_e32 v13, 0, v17, vcc
	v_cndmask_b32_e32 v16, 0, v16, vcc
	;; [unrolled: 1-line block ×4, first 2 shown]
	ds_write2st64_b32 v1, v2, v3 offset1:2
	ds_write2st64_b32 v1, v4, v0 offset0:4 offset1:6
	ds_write2st64_b32 v1, v6, v7 offset0:8 offset1:10
	;; [unrolled: 1-line block ×7, first 2 shown]
	s_waitcnt lgkmcnt(0)
	s_barrier
	ds_read_b128 v[30:33], v66
	ds_read_b128 v[52:55], v67 offset:16384
	ds_read_b128 v[68:71], v67 offset:16640
	;; [unrolled: 1-line block ×3, first 2 shown]
	v_mov_b32_e32 v0, 0
	v_mov_b32_e32 v1, 0
	;; [unrolled: 1-line block ×23, first 2 shown]
	s_waitcnt lgkmcnt(2)
	;;#ASMSTART
	
             v_fmac_f32 v0, v30, v52 
             
	;;#ASMEND
	;;#ASMSTART
	
             v_fmac_f32 v1, v30, v53 
             
	;;#ASMEND
	;; [unrolled: 5-line block ×16, first 2 shown]
	s_waitcnt lgkmcnt(1)
	;;#ASMSTART
	
             v_fmac_f32 v4, v30, v68 
             
	;;#ASMEND
	;;#ASMSTART
	
             v_fmac_f32 v5, v30, v69 
             
	;;#ASMEND
	;; [unrolled: 5-line block ×16, first 2 shown]
	v_mov_b32_e32 v30, 0
	v_mov_b32_e32 v31, 0
	;; [unrolled: 1-line block ×4, first 2 shown]
	ds_read_b128 v[76:79], v66 offset:512
	s_waitcnt lgkmcnt(1)
	;;#ASMSTART
	
             v_fmac_f32 v46, v72, v52 
             
	;;#ASMEND
	;;#ASMSTART
	
             v_fmac_f32 v47, v72, v53 
             
	;;#ASMEND
	;; [unrolled: 5-line block ×16, first 2 shown]
	v_mov_b32_e32 v52, 0
	v_mov_b32_e32 v53, 0
	;; [unrolled: 1-line block ×4, first 2 shown]
	ds_read_b128 v[80:83], v67 offset:16896
	;;#ASMSTART
	
             v_fmac_f32 v56, v72, v68 
             
	;;#ASMEND
	;;#ASMSTART
	
             v_fmac_f32 v57, v72, v69 
             
	;;#ASMEND
	;; [unrolled: 5-line block ×16, first 2 shown]
	ds_read_b128 v[68:71], v67 offset:17152
	ds_read_b128 v[72:75], v66 offset:768
	s_waitcnt lgkmcnt(2)
	;;#ASMSTART
	
             v_fmac_f32 v0, v76, v80 
             
	;;#ASMEND
	;;#ASMSTART
	
             v_fmac_f32 v1, v76, v81 
             
	;;#ASMEND
	;; [unrolled: 5-line block ×16, first 2 shown]
	s_waitcnt lgkmcnt(1)
	;;#ASMSTART
	
             v_fmac_f32 v4, v76, v68 
             
	;;#ASMEND
	;;#ASMSTART
	
             v_fmac_f32 v5, v76, v69 
             
	;;#ASMEND
	;; [unrolled: 5-line block ×16, first 2 shown]
	ds_read_b128 v[76:79], v66 offset:1024
	s_waitcnt lgkmcnt(1)
	;;#ASMSTART
	
             v_fmac_f32 v46, v72, v80 
             
	;;#ASMEND
	;;#ASMSTART
	
             v_fmac_f32 v47, v72, v81 
             
	;;#ASMEND
	;; [unrolled: 5-line block ×16, first 2 shown]
	ds_read_b128 v[80:83], v67 offset:17408
	;;#ASMSTART
	
             v_fmac_f32 v56, v72, v68 
             
	;;#ASMEND
	;;#ASMSTART
	
             v_fmac_f32 v57, v72, v69 
             
	;;#ASMEND
	;; [unrolled: 5-line block ×16, first 2 shown]
	ds_read_b128 v[68:71], v67 offset:17664
	ds_read_b128 v[72:75], v66 offset:1280
	s_waitcnt lgkmcnt(2)
	;;#ASMSTART
	
             v_fmac_f32 v0, v76, v80 
             
	;;#ASMEND
	;;#ASMSTART
	
             v_fmac_f32 v1, v76, v81 
             
	;;#ASMEND
	;; [unrolled: 5-line block ×16, first 2 shown]
	s_waitcnt lgkmcnt(1)
	;;#ASMSTART
	
             v_fmac_f32 v4, v76, v68 
             
	;;#ASMEND
	;;#ASMSTART
	
             v_fmac_f32 v5, v76, v69 
             
	;;#ASMEND
	;; [unrolled: 5-line block ×16, first 2 shown]
	ds_read_b128 v[76:79], v66 offset:1536
	s_waitcnt lgkmcnt(1)
	;;#ASMSTART
	
             v_fmac_f32 v46, v72, v80 
             
	;;#ASMEND
	;;#ASMSTART
	
             v_fmac_f32 v47, v72, v81 
             
	;;#ASMEND
	;; [unrolled: 5-line block ×16, first 2 shown]
	ds_read_b128 v[80:83], v67 offset:17920
	;;#ASMSTART
	
             v_fmac_f32 v56, v72, v68 
             
	;;#ASMEND
	;;#ASMSTART
	
             v_fmac_f32 v57, v72, v69 
             
	;;#ASMEND
	;; [unrolled: 5-line block ×16, first 2 shown]
	ds_read_b128 v[68:71], v67 offset:18176
	ds_read_b128 v[72:75], v66 offset:1792
	s_waitcnt lgkmcnt(2)
	;;#ASMSTART
	
             v_fmac_f32 v0, v76, v80 
             
	;;#ASMEND
	;;#ASMSTART
	
             v_fmac_f32 v1, v76, v81 
             
	;;#ASMEND
	;;#ASMSTART
	
             v_fmac_f32 v2, v76, v82 
             
	;;#ASMEND
	;;#ASMSTART
	
             v_fmac_f32 v3, v76, v83 
             
	;;#ASMEND
	;;#ASMSTART
	
             v_fmac_f32 v8, v77, v80 
             
	;;#ASMEND
	;;#ASMSTART
	
             v_fmac_f32 v9, v77, v81 
             
	;;#ASMEND
	;;#ASMSTART
	
             v_fmac_f32 v10, v77, v82 
             
	;;#ASMEND
	;;#ASMSTART
	
             v_fmac_f32 v11, v77, v83 
             
	;;#ASMEND
	;;#ASMSTART
	
             v_fmac_f32 v18, v78, v80 
             
	;;#ASMEND
	;;#ASMSTART
	
             v_fmac_f32 v19, v78, v81 
             
	;;#ASMEND
	;;#ASMSTART
	
             v_fmac_f32 v16, v78, v82 
             
	;;#ASMEND
	;;#ASMSTART
	
             v_fmac_f32 v17, v78, v83 
             
	;;#ASMEND
	;;#ASMSTART
	
             v_fmac_f32 v24, v79, v80 
             
	;;#ASMEND
	;;#ASMSTART
	
             v_fmac_f32 v25, v79, v81 
             
	;;#ASMEND
	;;#ASMSTART
	
             v_fmac_f32 v26, v79, v82 
             
	;;#ASMEND
	;;#ASMSTART
	
             v_fmac_f32 v27, v79, v83 
             
	;;#ASMEND
	s_waitcnt lgkmcnt(1)
	;;#ASMSTART
	
             v_fmac_f32 v4, v76, v68 
             
	;;#ASMEND
	;;#ASMSTART
	
             v_fmac_f32 v5, v76, v69 
             
	;;#ASMEND
	;; [unrolled: 5-line block ×16, first 2 shown]
	ds_read_b128 v[76:79], v66 offset:2048
	s_waitcnt lgkmcnt(1)
	;;#ASMSTART
	
             v_fmac_f32 v46, v72, v80 
             
	;;#ASMEND
	;;#ASMSTART
	
             v_fmac_f32 v47, v72, v81 
             
	;;#ASMEND
	;; [unrolled: 5-line block ×16, first 2 shown]
	ds_read_b128 v[80:83], v67 offset:18432
	;;#ASMSTART
	
             v_fmac_f32 v56, v72, v68 
             
	;;#ASMEND
	;;#ASMSTART
	
             v_fmac_f32 v57, v72, v69 
             
	;;#ASMEND
	;; [unrolled: 5-line block ×16, first 2 shown]
	ds_read_b128 v[68:71], v67 offset:18688
	ds_read_b128 v[72:75], v66 offset:2304
	s_waitcnt lgkmcnt(2)
	;;#ASMSTART
	
             v_fmac_f32 v0, v76, v80 
             
	;;#ASMEND
	;;#ASMSTART
	
             v_fmac_f32 v1, v76, v81 
             
	;;#ASMEND
	;; [unrolled: 5-line block ×16, first 2 shown]
	s_waitcnt lgkmcnt(1)
	;;#ASMSTART
	
             v_fmac_f32 v4, v76, v68 
             
	;;#ASMEND
	;;#ASMSTART
	
             v_fmac_f32 v5, v76, v69 
             
	;;#ASMEND
	;; [unrolled: 5-line block ×16, first 2 shown]
	ds_read_b128 v[76:79], v66 offset:2560
	s_waitcnt lgkmcnt(1)
	;;#ASMSTART
	
             v_fmac_f32 v46, v72, v80 
             
	;;#ASMEND
	;;#ASMSTART
	
             v_fmac_f32 v47, v72, v81 
             
	;;#ASMEND
	;;#ASMSTART
	
             v_fmac_f32 v50, v72, v82 
             
	;;#ASMEND
	;;#ASMSTART
	
             v_fmac_f32 v51, v72, v83 
             
	;;#ASMEND
	;;#ASMSTART
	
             v_fmac_f32 v40, v73, v80 
             
	;;#ASMEND
	;;#ASMSTART
	
             v_fmac_f32 v41, v73, v81 
             
	;;#ASMEND
	;;#ASMSTART
	
             v_fmac_f32 v42, v73, v82 
             
	;;#ASMEND
	;;#ASMSTART
	
             v_fmac_f32 v43, v73, v83 
             
	;;#ASMEND
	;;#ASMSTART
	
             v_fmac_f32 v34, v74, v80 
             
	;;#ASMEND
	;;#ASMSTART
	
             v_fmac_f32 v35, v74, v81 
             
	;;#ASMEND
	;;#ASMSTART
	
             v_fmac_f32 v36, v74, v82 
             
	;;#ASMEND
	;;#ASMSTART
	
             v_fmac_f32 v37, v74, v83 
             
	;;#ASMEND
	;;#ASMSTART
	
             v_fmac_f32 v30, v75, v80 
             
	;;#ASMEND
	;;#ASMSTART
	
             v_fmac_f32 v31, v75, v81 
             
	;;#ASMEND
	;;#ASMSTART
	
             v_fmac_f32 v32, v75, v82 
             
	;;#ASMEND
	;;#ASMSTART
	
             v_fmac_f32 v33, v75, v83 
             
	;;#ASMEND
	ds_read_b128 v[80:83], v67 offset:18944
	;;#ASMSTART
	
             v_fmac_f32 v56, v72, v68 
             
	;;#ASMEND
	;;#ASMSTART
	
             v_fmac_f32 v57, v72, v69 
             
	;;#ASMEND
	;; [unrolled: 5-line block ×16, first 2 shown]
	ds_read_b128 v[68:71], v67 offset:19200
	ds_read_b128 v[72:75], v66 offset:2816
	s_waitcnt lgkmcnt(2)
	;;#ASMSTART
	
             v_fmac_f32 v0, v76, v80 
             
	;;#ASMEND
	;;#ASMSTART
	
             v_fmac_f32 v1, v76, v81 
             
	;;#ASMEND
	;; [unrolled: 5-line block ×16, first 2 shown]
	s_waitcnt lgkmcnt(1)
	;;#ASMSTART
	
             v_fmac_f32 v4, v76, v68 
             
	;;#ASMEND
	;;#ASMSTART
	
             v_fmac_f32 v5, v76, v69 
             
	;;#ASMEND
	;; [unrolled: 5-line block ×16, first 2 shown]
	ds_read_b128 v[76:79], v66 offset:3072
	s_waitcnt lgkmcnt(1)
	;;#ASMSTART
	
             v_fmac_f32 v46, v72, v80 
             
	;;#ASMEND
	;;#ASMSTART
	
             v_fmac_f32 v47, v72, v81 
             
	;;#ASMEND
	;; [unrolled: 5-line block ×16, first 2 shown]
	ds_read_b128 v[80:83], v67 offset:19456
	;;#ASMSTART
	
             v_fmac_f32 v56, v72, v68 
             
	;;#ASMEND
	;;#ASMSTART
	
             v_fmac_f32 v57, v72, v69 
             
	;;#ASMEND
	;; [unrolled: 5-line block ×16, first 2 shown]
	ds_read_b128 v[68:71], v67 offset:19712
	ds_read_b128 v[72:75], v66 offset:3328
	s_waitcnt lgkmcnt(2)
	;;#ASMSTART
	
             v_fmac_f32 v0, v76, v80 
             
	;;#ASMEND
	;;#ASMSTART
	
             v_fmac_f32 v1, v76, v81 
             
	;;#ASMEND
	;; [unrolled: 5-line block ×16, first 2 shown]
	s_waitcnt lgkmcnt(1)
	;;#ASMSTART
	
             v_fmac_f32 v4, v76, v68 
             
	;;#ASMEND
	;;#ASMSTART
	
             v_fmac_f32 v5, v76, v69 
             
	;;#ASMEND
	;; [unrolled: 5-line block ×16, first 2 shown]
	ds_read_b128 v[76:79], v66 offset:3584
	s_waitcnt lgkmcnt(1)
	;;#ASMSTART
	
             v_fmac_f32 v46, v72, v80 
             
	;;#ASMEND
	;;#ASMSTART
	
             v_fmac_f32 v47, v72, v81 
             
	;;#ASMEND
	;; [unrolled: 5-line block ×16, first 2 shown]
	ds_read_b128 v[80:83], v67 offset:19968
	;;#ASMSTART
	
             v_fmac_f32 v56, v72, v68 
             
	;;#ASMEND
	;;#ASMSTART
	
             v_fmac_f32 v57, v72, v69 
             
	;;#ASMEND
	;; [unrolled: 5-line block ×16, first 2 shown]
	ds_read_b128 v[68:71], v67 offset:20224
	ds_read_b128 v[72:75], v66 offset:3840
	s_waitcnt lgkmcnt(2)
	;;#ASMSTART
	
             v_fmac_f32 v0, v76, v80 
             
	;;#ASMEND
	;;#ASMSTART
	
             v_fmac_f32 v1, v76, v81 
             
	;;#ASMEND
	;; [unrolled: 5-line block ×16, first 2 shown]
	s_waitcnt lgkmcnt(1)
	;;#ASMSTART
	
             v_fmac_f32 v4, v76, v68 
             
	;;#ASMEND
	;;#ASMSTART
	
             v_fmac_f32 v5, v76, v69 
             
	;;#ASMEND
	;; [unrolled: 5-line block ×16, first 2 shown]
	ds_read_b128 v[76:79], v66 offset:4096
	s_waitcnt lgkmcnt(1)
	;;#ASMSTART
	
             v_fmac_f32 v46, v72, v80 
             
	;;#ASMEND
	;;#ASMSTART
	
             v_fmac_f32 v47, v72, v81 
             
	;;#ASMEND
	;; [unrolled: 5-line block ×16, first 2 shown]
	ds_read_b128 v[80:83], v67 offset:20480
	;;#ASMSTART
	
             v_fmac_f32 v56, v72, v68 
             
	;;#ASMEND
	;;#ASMSTART
	
             v_fmac_f32 v57, v72, v69 
             
	;;#ASMEND
	;; [unrolled: 5-line block ×16, first 2 shown]
	ds_read_b128 v[68:71], v67 offset:20736
	ds_read_b128 v[72:75], v66 offset:4352
	s_waitcnt lgkmcnt(2)
	;;#ASMSTART
	
             v_fmac_f32 v0, v76, v80 
             
	;;#ASMEND
	;;#ASMSTART
	
             v_fmac_f32 v1, v76, v81 
             
	;;#ASMEND
	;; [unrolled: 5-line block ×16, first 2 shown]
	s_waitcnt lgkmcnt(1)
	;;#ASMSTART
	
             v_fmac_f32 v4, v76, v68 
             
	;;#ASMEND
	;;#ASMSTART
	
             v_fmac_f32 v5, v76, v69 
             
	;;#ASMEND
	;; [unrolled: 5-line block ×16, first 2 shown]
	ds_read_b128 v[76:79], v66 offset:4608
	s_waitcnt lgkmcnt(1)
	;;#ASMSTART
	
             v_fmac_f32 v46, v72, v80 
             
	;;#ASMEND
	;;#ASMSTART
	
             v_fmac_f32 v47, v72, v81 
             
	;;#ASMEND
	;;#ASMSTART
	
             v_fmac_f32 v50, v72, v82 
             
	;;#ASMEND
	;;#ASMSTART
	
             v_fmac_f32 v51, v72, v83 
             
	;;#ASMEND
	;;#ASMSTART
	
             v_fmac_f32 v40, v73, v80 
             
	;;#ASMEND
	;;#ASMSTART
	
             v_fmac_f32 v41, v73, v81 
             
	;;#ASMEND
	;;#ASMSTART
	
             v_fmac_f32 v42, v73, v82 
             
	;;#ASMEND
	;;#ASMSTART
	
             v_fmac_f32 v43, v73, v83 
             
	;;#ASMEND
	;;#ASMSTART
	
             v_fmac_f32 v34, v74, v80 
             
	;;#ASMEND
	;;#ASMSTART
	
             v_fmac_f32 v35, v74, v81 
             
	;;#ASMEND
	;;#ASMSTART
	
             v_fmac_f32 v36, v74, v82 
             
	;;#ASMEND
	;;#ASMSTART
	
             v_fmac_f32 v37, v74, v83 
             
	;;#ASMEND
	;;#ASMSTART
	
             v_fmac_f32 v30, v75, v80 
             
	;;#ASMEND
	;;#ASMSTART
	
             v_fmac_f32 v31, v75, v81 
             
	;;#ASMEND
	;;#ASMSTART
	
             v_fmac_f32 v32, v75, v82 
             
	;;#ASMEND
	;;#ASMSTART
	
             v_fmac_f32 v33, v75, v83 
             
	;;#ASMEND
	ds_read_b128 v[80:83], v67 offset:20992
	;;#ASMSTART
	
             v_fmac_f32 v56, v72, v68 
             
	;;#ASMEND
	;;#ASMSTART
	
             v_fmac_f32 v57, v72, v69 
             
	;;#ASMEND
	;; [unrolled: 5-line block ×16, first 2 shown]
	ds_read_b128 v[68:71], v67 offset:21248
	ds_read_b128 v[72:75], v66 offset:4864
	s_waitcnt lgkmcnt(2)
	;;#ASMSTART
	
             v_fmac_f32 v0, v76, v80 
             
	;;#ASMEND
	;;#ASMSTART
	
             v_fmac_f32 v1, v76, v81 
             
	;;#ASMEND
	;; [unrolled: 5-line block ×16, first 2 shown]
	s_waitcnt lgkmcnt(1)
	;;#ASMSTART
	
             v_fmac_f32 v4, v76, v68 
             
	;;#ASMEND
	;;#ASMSTART
	
             v_fmac_f32 v5, v76, v69 
             
	;;#ASMEND
	;; [unrolled: 5-line block ×16, first 2 shown]
	ds_read_b128 v[76:79], v66 offset:5120
	s_waitcnt lgkmcnt(1)
	;;#ASMSTART
	
             v_fmac_f32 v46, v72, v80 
             
	;;#ASMEND
	;;#ASMSTART
	
             v_fmac_f32 v47, v72, v81 
             
	;;#ASMEND
	;; [unrolled: 5-line block ×16, first 2 shown]
	ds_read_b128 v[80:83], v67 offset:21504
	;;#ASMSTART
	
             v_fmac_f32 v56, v72, v68 
             
	;;#ASMEND
	;;#ASMSTART
	
             v_fmac_f32 v57, v72, v69 
             
	;;#ASMEND
	;; [unrolled: 5-line block ×16, first 2 shown]
	ds_read_b128 v[68:71], v67 offset:21760
	ds_read_b128 v[72:75], v66 offset:5376
	s_waitcnt lgkmcnt(2)
	;;#ASMSTART
	
             v_fmac_f32 v0, v76, v80 
             
	;;#ASMEND
	;;#ASMSTART
	
             v_fmac_f32 v1, v76, v81 
             
	;;#ASMEND
	;; [unrolled: 5-line block ×16, first 2 shown]
	s_waitcnt lgkmcnt(1)
	;;#ASMSTART
	
             v_fmac_f32 v4, v76, v68 
             
	;;#ASMEND
	;;#ASMSTART
	
             v_fmac_f32 v5, v76, v69 
             
	;;#ASMEND
	;; [unrolled: 5-line block ×16, first 2 shown]
	ds_read_b128 v[76:79], v66 offset:5632
	s_waitcnt lgkmcnt(1)
	;;#ASMSTART
	
             v_fmac_f32 v46, v72, v80 
             
	;;#ASMEND
	;;#ASMSTART
	
             v_fmac_f32 v47, v72, v81 
             
	;;#ASMEND
	;; [unrolled: 5-line block ×16, first 2 shown]
	ds_read_b128 v[80:83], v67 offset:22016
	;;#ASMSTART
	
             v_fmac_f32 v56, v72, v68 
             
	;;#ASMEND
	;;#ASMSTART
	
             v_fmac_f32 v57, v72, v69 
             
	;;#ASMEND
	;;#ASMSTART
	
             v_fmac_f32 v58, v72, v70 
             
	;;#ASMEND
	;;#ASMSTART
	
             v_fmac_f32 v59, v72, v71 
             
	;;#ASMEND
	;;#ASMSTART
	
             v_fmac_f32 v52, v73, v68 
             
	;;#ASMEND
	;;#ASMSTART
	
             v_fmac_f32 v53, v73, v69 
             
	;;#ASMEND
	;;#ASMSTART
	
             v_fmac_f32 v54, v73, v70 
             
	;;#ASMEND
	;;#ASMSTART
	
             v_fmac_f32 v55, v73, v71 
             
	;;#ASMEND
	;;#ASMSTART
	
             v_fmac_f32 v44, v74, v68 
             
	;;#ASMEND
	;;#ASMSTART
	
             v_fmac_f32 v45, v74, v69 
             
	;;#ASMEND
	;;#ASMSTART
	
             v_fmac_f32 v48, v74, v70 
             
	;;#ASMEND
	;;#ASMSTART
	
             v_fmac_f32 v49, v74, v71 
             
	;;#ASMEND
	;;#ASMSTART
	
             v_fmac_f32 v38, v75, v68 
             
	;;#ASMEND
	;;#ASMSTART
	
             v_fmac_f32 v39, v75, v69 
             
	;;#ASMEND
	;;#ASMSTART
	
             v_fmac_f32 v28, v75, v70 
             
	;;#ASMEND
	;;#ASMSTART
	
             v_fmac_f32 v29, v75, v71 
             
	;;#ASMEND
	ds_read_b128 v[68:71], v67 offset:22272
	ds_read_b128 v[72:75], v66 offset:5888
	s_waitcnt lgkmcnt(2)
	;;#ASMSTART
	
             v_fmac_f32 v0, v76, v80 
             
	;;#ASMEND
	;;#ASMSTART
	
             v_fmac_f32 v1, v76, v81 
             
	;;#ASMEND
	;; [unrolled: 5-line block ×16, first 2 shown]
	s_waitcnt lgkmcnt(1)
	;;#ASMSTART
	
             v_fmac_f32 v4, v76, v68 
             
	;;#ASMEND
	;;#ASMSTART
	
             v_fmac_f32 v5, v76, v69 
             
	;;#ASMEND
	;; [unrolled: 5-line block ×16, first 2 shown]
	ds_read_b128 v[76:79], v66 offset:6144
	s_waitcnt lgkmcnt(1)
	;;#ASMSTART
	
             v_fmac_f32 v46, v72, v80 
             
	;;#ASMEND
	;;#ASMSTART
	
             v_fmac_f32 v47, v72, v81 
             
	;;#ASMEND
	;; [unrolled: 5-line block ×16, first 2 shown]
	ds_read_b128 v[80:83], v67 offset:22528
	;;#ASMSTART
	
             v_fmac_f32 v56, v72, v68 
             
	;;#ASMEND
	;;#ASMSTART
	
             v_fmac_f32 v57, v72, v69 
             
	;;#ASMEND
	;; [unrolled: 5-line block ×16, first 2 shown]
	ds_read_b128 v[68:71], v67 offset:22784
	ds_read_b128 v[72:75], v66 offset:6400
	s_waitcnt lgkmcnt(2)
	;;#ASMSTART
	
             v_fmac_f32 v0, v76, v80 
             
	;;#ASMEND
	;;#ASMSTART
	
             v_fmac_f32 v1, v76, v81 
             
	;;#ASMEND
	;; [unrolled: 5-line block ×16, first 2 shown]
	s_waitcnt lgkmcnt(1)
	;;#ASMSTART
	
             v_fmac_f32 v4, v76, v68 
             
	;;#ASMEND
	;;#ASMSTART
	
             v_fmac_f32 v5, v76, v69 
             
	;;#ASMEND
	;;#ASMSTART
	
             v_fmac_f32 v6, v76, v70 
             
	;;#ASMEND
	;;#ASMSTART
	
             v_fmac_f32 v7, v76, v71 
             
	;;#ASMEND
	;;#ASMSTART
	
             v_fmac_f32 v12, v77, v68 
             
	;;#ASMEND
	;;#ASMSTART
	
             v_fmac_f32 v13, v77, v69 
             
	;;#ASMEND
	;;#ASMSTART
	
             v_fmac_f32 v14, v77, v70 
             
	;;#ASMEND
	;;#ASMSTART
	
             v_fmac_f32 v15, v77, v71 
             
	;;#ASMEND
	;;#ASMSTART
	
             v_fmac_f32 v20, v78, v68 
             
	;;#ASMEND
	;;#ASMSTART
	
             v_fmac_f32 v21, v78, v69 
             
	;;#ASMEND
	;;#ASMSTART
	
             v_fmac_f32 v22, v78, v70 
             
	;;#ASMEND
	;;#ASMSTART
	
             v_fmac_f32 v23, v78, v71 
             
	;;#ASMEND
	;;#ASMSTART
	
             v_fmac_f32 v60, v79, v68 
             
	;;#ASMEND
	;;#ASMSTART
	
             v_fmac_f32 v61, v79, v69 
             
	;;#ASMEND
	;;#ASMSTART
	
             v_fmac_f32 v62, v79, v70 
             
	;;#ASMEND
	;;#ASMSTART
	
             v_fmac_f32 v63, v79, v71 
             
	;;#ASMEND
	ds_read_b128 v[76:79], v66 offset:6656
	s_waitcnt lgkmcnt(1)
	;;#ASMSTART
	
             v_fmac_f32 v46, v72, v80 
             
	;;#ASMEND
	;;#ASMSTART
	
             v_fmac_f32 v47, v72, v81 
             
	;;#ASMEND
	;; [unrolled: 5-line block ×16, first 2 shown]
	ds_read_b128 v[80:83], v67 offset:23040
	;;#ASMSTART
	
             v_fmac_f32 v56, v72, v68 
             
	;;#ASMEND
	;;#ASMSTART
	
             v_fmac_f32 v57, v72, v69 
             
	;;#ASMEND
	;; [unrolled: 5-line block ×16, first 2 shown]
	ds_read_b128 v[68:71], v67 offset:23296
	ds_read_b128 v[72:75], v66 offset:6912
	s_waitcnt lgkmcnt(2)
	;;#ASMSTART
	
             v_fmac_f32 v0, v76, v80 
             
	;;#ASMEND
	;;#ASMSTART
	
             v_fmac_f32 v1, v76, v81 
             
	;;#ASMEND
	;; [unrolled: 5-line block ×16, first 2 shown]
	s_waitcnt lgkmcnt(1)
	;;#ASMSTART
	
             v_fmac_f32 v4, v76, v68 
             
	;;#ASMEND
	;;#ASMSTART
	
             v_fmac_f32 v5, v76, v69 
             
	;;#ASMEND
	;; [unrolled: 5-line block ×16, first 2 shown]
	ds_read_b128 v[76:79], v66 offset:7168
	s_waitcnt lgkmcnt(1)
	;;#ASMSTART
	
             v_fmac_f32 v46, v72, v80 
             
	;;#ASMEND
	;;#ASMSTART
	
             v_fmac_f32 v47, v72, v81 
             
	;;#ASMEND
	;; [unrolled: 5-line block ×16, first 2 shown]
	ds_read_b128 v[80:83], v67 offset:23552
	;;#ASMSTART
	
             v_fmac_f32 v56, v72, v68 
             
	;;#ASMEND
	;;#ASMSTART
	
             v_fmac_f32 v57, v72, v69 
             
	;;#ASMEND
	;; [unrolled: 5-line block ×16, first 2 shown]
	ds_read_b128 v[68:71], v67 offset:23808
	ds_read_b128 v[72:75], v66 offset:7424
	s_waitcnt lgkmcnt(2)
	;;#ASMSTART
	
             v_fmac_f32 v0, v76, v80 
             
	;;#ASMEND
	;;#ASMSTART
	
             v_fmac_f32 v1, v76, v81 
             
	;;#ASMEND
	;; [unrolled: 5-line block ×16, first 2 shown]
	s_waitcnt lgkmcnt(1)
	;;#ASMSTART
	
             v_fmac_f32 v4, v76, v68 
             
	;;#ASMEND
	;;#ASMSTART
	
             v_fmac_f32 v5, v76, v69 
             
	;;#ASMEND
	;; [unrolled: 5-line block ×16, first 2 shown]
	ds_read_b128 v[76:79], v66 offset:7680
	s_waitcnt lgkmcnt(1)
	;;#ASMSTART
	
             v_fmac_f32 v46, v72, v80 
             
	;;#ASMEND
	;;#ASMSTART
	
             v_fmac_f32 v47, v72, v81 
             
	;;#ASMEND
	;; [unrolled: 5-line block ×16, first 2 shown]
	ds_read_b128 v[80:83], v67 offset:24064
	;;#ASMSTART
	
             v_fmac_f32 v56, v72, v68 
             
	;;#ASMEND
	;;#ASMSTART
	
             v_fmac_f32 v57, v72, v69 
             
	;;#ASMEND
	;; [unrolled: 5-line block ×16, first 2 shown]
	ds_read_b128 v[68:71], v67 offset:24320
	ds_read_b128 v[72:75], v66 offset:7936
	v_mul_lo_u32 v66, v65, s8
	s_waitcnt lgkmcnt(2)
	;;#ASMSTART
	
             v_fmac_f32 v0, v76, v80 
             
	;;#ASMEND
	;;#ASMSTART
	
             v_fmac_f32 v1, v76, v81 
             
	;;#ASMEND
	;; [unrolled: 5-line block ×16, first 2 shown]
	s_waitcnt lgkmcnt(1)
	;;#ASMSTART
	
             v_fmac_f32 v4, v76, v68 
             
	;;#ASMEND
	;;#ASMSTART
	
             v_fmac_f32 v5, v76, v69 
             
	;;#ASMEND
	;; [unrolled: 5-line block ×16, first 2 shown]
	s_waitcnt lgkmcnt(0)
	;;#ASMSTART
	
             v_fmac_f32 v46, v72, v80 
             
	;;#ASMEND
	;;#ASMSTART
	
             v_fmac_f32 v47, v72, v81 
             
	;;#ASMEND
	;; [unrolled: 5-line block ×32, first 2 shown]
	v_mad_u64_u32 v[74:75], s[0:1], v64, s9, v[66:67]
	s_mov_b32 s27, s23
	v_lshlrev_b32_e32 v66, 2, v74
	buffer_load_dwordx4 v[66:69], v66, s[24:27], 0 offen
	s_lshl_b32 s13, s9, 6
	v_add_lshl_u32 v70, v74, s13, 2
	buffer_load_dwordx4 v[70:73], v70, s[24:27], 0 offen
	v_add_u32_e32 v82, s8, v74
	v_lshlrev_b32_e32 v74, 2, v82
	buffer_load_dwordx4 v[74:77], v74, s[24:27], 0 offen
	v_add_lshl_u32 v78, v82, s13, 2
	buffer_load_dwordx4 v[78:81], v78, s[24:27], 0 offen
	v_add_u32_e32 v90, s8, v82
	v_lshlrev_b32_e32 v82, 2, v90
	buffer_load_dwordx4 v[82:85], v82, s[24:27], 0 offen
	v_cmp_gt_i32_e32 vcc, s11, v64
	v_cmp_gt_i32_e64 s[2:3], s10, v65
	v_add_lshl_u32 v86, v90, s13, 2
	buffer_load_dwordx4 v[86:89], v86, s[24:27], 0 offen
	s_and_b64 s[0:1], s[2:3], vcc
	v_add_u32_e32 v100, 64, v64
	v_add_u32_e32 v90, s8, v90
	v_or_b32_e32 v101, 1, v65
	s_load_dwordx2 s[6:7], s[4:5], 0x1a8
	s_load_dword s9, s[4:5], 0x1b4
	s_load_dword s12, s[4:5], 0x1c0
	;; [unrolled: 1-line block ×3, first 2 shown]
	v_or_b32_e32 v102, 2, v65
	v_or_b32_e32 v103, 3, v65
	v_add_u32_e32 v104, 64, v65
	s_mov_b32 s19, s23
	s_waitcnt lgkmcnt(0)
	s_lshl_b32 s18, s14, 2
	s_waitcnt vmcnt(5)
	v_cndmask_b32_e64 v69, 0, v69, s[0:1]
	v_cndmask_b32_e64 v68, 0, v68, s[0:1]
	;; [unrolled: 1-line block ×4, first 2 shown]
	v_cmp_gt_i32_e64 s[0:1], s11, v100
	v_pk_add_f32 v[0:1], v[0:1], v[66:67]
	v_lshlrev_b32_e32 v66, 2, v90
	s_and_b64 s[2:3], s[2:3], s[0:1]
	v_pk_add_f32 v[2:3], v[2:3], v[68:69]
	buffer_load_dwordx4 v[66:69], v66, s[24:27], 0 offen
	s_waitcnt vmcnt(5)
	v_cndmask_b32_e64 v73, 0, v73, s[2:3]
	v_cndmask_b32_e64 v72, 0, v72, s[2:3]
	;; [unrolled: 1-line block ×4, first 2 shown]
	v_cmp_gt_i32_e64 s[2:3], s10, v101
	v_pk_add_f32 v[4:5], v[4:5], v[70:71]
	v_add_lshl_u32 v70, v90, s13, 2
	s_and_b64 s[4:5], s[2:3], vcc
	v_pk_add_f32 v[6:7], v[6:7], v[72:73]
	buffer_load_dwordx4 v[70:73], v70, s[24:27], 0 offen
	s_waitcnt vmcnt(5)
	v_cndmask_b32_e64 v77, 0, v77, s[4:5]
	v_cndmask_b32_e64 v76, 0, v76, s[4:5]
	;; [unrolled: 1-line block ×4, first 2 shown]
	v_mad_u64_u32 v[90:91], s[4:5], s8, 61, v[90:91]
	v_pk_add_f32 v[8:9], v[8:9], v[74:75]
	v_lshlrev_b32_e32 v74, 2, v90
	v_pk_add_f32 v[10:11], v[10:11], v[76:77]
	buffer_load_dwordx4 v[74:77], v74, s[24:27], 0 offen
	s_and_b64 s[2:3], s[2:3], s[0:1]
	s_waitcnt vmcnt(5)
	v_cndmask_b32_e64 v79, 0, v79, s[2:3]
	v_cndmask_b32_e64 v78, 0, v78, s[2:3]
	;; [unrolled: 1-line block ×4, first 2 shown]
	v_pk_add_f32 v[12:13], v[12:13], v[78:79]
	v_add_lshl_u32 v78, v90, s13, 2
	v_cmp_gt_i32_e64 s[2:3], s10, v102
	v_pk_add_f32 v[14:15], v[14:15], v[80:81]
	buffer_load_dwordx4 v[78:81], v78, s[24:27], 0 offen
	s_and_b64 s[4:5], s[2:3], vcc
	s_waitcnt vmcnt(5)
	v_cndmask_b32_e64 v83, 0, v83, s[4:5]
	v_cndmask_b32_e64 v82, 0, v82, s[4:5]
	v_add_u32_e32 v96, s8, v90
	v_cndmask_b32_e64 v93, 0, v85, s[4:5]
	v_cndmask_b32_e64 v92, 0, v84, s[4:5]
	v_pk_add_f32 v[94:95], v[18:19], v[82:83]
	v_lshlrev_b32_e32 v18, 2, v96
	s_and_b64 s[2:3], s[2:3], s[0:1]
	buffer_load_dwordx4 v[82:85], v18, s[24:27], 0 offen
	v_pk_add_f32 v[16:17], v[16:17], v[92:93]
	s_waitcnt vmcnt(5)
	v_cndmask_b32_e64 v93, 0, v89, s[2:3]
	v_cndmask_b32_e64 v92, 0, v88, s[2:3]
	;; [unrolled: 1-line block ×3, first 2 shown]
	v_add_lshl_u32 v88, v96, s13, 2
	v_cndmask_b32_e64 v86, 0, v86, s[2:3]
	v_cmp_gt_i32_e64 s[2:3], s10, v103
	buffer_load_dwordx4 v[88:91], v88, s[24:27], 0 offen
	v_pk_add_f32 v[20:21], v[20:21], v[86:87]
	v_add_u32_e32 v86, s8, v96
	s_and_b64 s[4:5], s[2:3], vcc
	v_lshlrev_b32_e32 v87, 2, v86
	v_max_f32_e32 v19, 0, v17
	v_max_f32_e32 v18, 0, v16
	;; [unrolled: 1-line block ×4, first 2 shown]
	v_pk_add_f32 v[22:23], v[22:23], v[92:93]
	buffer_load_dwordx4 v[92:95], v87, s[24:27], 0 offen
	s_and_b64 s[2:3], s[2:3], s[0:1]
	v_add_u32_e32 v98, s8, v86
	v_max_f32_e32 v3, 0, v3
	v_max_f32_e32 v2, 0, v2
	;; [unrolled: 1-line block ×4, first 2 shown]
	s_lshl_b32 s8, s7, 6
	v_max_f32_e32 v7, 0, v7
	v_max_f32_e32 v6, 0, v6
	;; [unrolled: 1-line block ×14, first 2 shown]
	s_waitcnt vmcnt(6)
	v_cndmask_b32_e64 v67, 0, v67, s[4:5]
	v_cndmask_b32_e64 v66, 0, v66, s[4:5]
	;; [unrolled: 1-line block ×4, first 2 shown]
	v_pk_add_f32 v[24:25], v[24:25], v[66:67]
	v_add_lshl_u32 v66, v86, s13, 2
	v_pk_add_f32 v[26:27], v[26:27], v[68:69]
	buffer_load_dwordx4 v[66:69], v66, s[24:27], 0 offen
	v_max_f32_e32 v21, 0, v21
	v_max_f32_e32 v20, 0, v20
	s_waitcnt vmcnt(6)
	v_cndmask_b32_e64 v73, 0, v73, s[2:3]
	v_cndmask_b32_e64 v72, 0, v72, s[2:3]
	;; [unrolled: 1-line block ×4, first 2 shown]
	v_cmp_gt_i32_e64 s[2:3], s10, v104
	v_pk_add_f32 v[60:61], v[60:61], v[70:71]
	v_lshlrev_b32_e32 v70, 2, v98
	s_and_b64 s[4:5], s[2:3], vcc
	v_pk_add_f32 v[62:63], v[62:63], v[72:73]
	buffer_load_dwordx4 v[70:73], v70, s[24:27], 0 offen
	s_waitcnt vmcnt(6)
	v_cndmask_b32_e64 v96, 0, v74, s[4:5]
	v_add_lshl_u32 v74, v98, s13, 2
	v_cndmask_b32_e64 v87, 0, v77, s[4:5]
	v_cndmask_b32_e64 v86, 0, v76, s[4:5]
	;; [unrolled: 1-line block ×3, first 2 shown]
	buffer_load_dwordx4 v[74:77], v74, s[24:27], 0 offen
	v_pk_add_f32 v[50:51], v[50:51], v[86:87]
	s_and_b64 s[2:3], s[2:3], s[0:1]
	v_pk_add_f32 v[46:47], v[46:47], v[96:97]
	v_max_f32_e32 v98, 0, v50
	s_waitcnt vmcnt(6)
	v_cndmask_b32_e64 v50, 0, v78, s[2:3]
	v_add_u32_e32 v78, 0x41, v65
	v_max_f32_e32 v99, 0, v51
	v_max_f32_e32 v97, 0, v47
	;; [unrolled: 1-line block ×3, first 2 shown]
	v_cndmask_b32_e64 v47, 0, v81, s[2:3]
	v_cndmask_b32_e64 v46, 0, v80, s[2:3]
	;; [unrolled: 1-line block ×3, first 2 shown]
	v_cmp_gt_i32_e64 s[2:3], s10, v78
	v_pk_add_f32 v[50:51], v[56:57], v[50:51]
	v_pk_add_f32 v[46:47], v[58:59], v[46:47]
	s_and_b64 s[4:5], s[2:3], vcc
	v_max_f32_e32 v59, 0, v47
	v_max_f32_e32 v58, 0, v46
	;; [unrolled: 1-line block ×4, first 2 shown]
	s_waitcnt vmcnt(5)
	v_cndmask_b32_e64 v47, 0, v85, s[4:5]
	v_cndmask_b32_e64 v46, 0, v84, s[4:5]
	;; [unrolled: 1-line block ×4, first 2 shown]
	s_and_b64 s[2:3], s[2:3], s[0:1]
	v_add_u32_e32 v79, 0x42, v65
	v_pk_add_f32 v[40:41], v[40:41], v[50:51]
	v_pk_add_f32 v[42:43], v[42:43], v[46:47]
	s_waitcnt vmcnt(4)
	v_cndmask_b32_e64 v47, 0, v91, s[2:3]
	v_cndmask_b32_e64 v46, 0, v90, s[2:3]
	;; [unrolled: 1-line block ×4, first 2 shown]
	v_cmp_gt_i32_e64 s[2:3], s10, v79
	v_pk_add_f32 v[46:47], v[54:55], v[46:47]
	s_and_b64 s[4:5], s[2:3], vcc
	v_pk_add_f32 v[50:51], v[52:53], v[50:51]
	v_max_f32_e32 v53, 0, v47
	v_max_f32_e32 v52, 0, v46
	s_waitcnt vmcnt(3)
	v_cndmask_b32_e64 v47, 0, v95, s[4:5]
	v_cndmask_b32_e64 v46, 0, v94, s[4:5]
	;; [unrolled: 1-line block ×4, first 2 shown]
	s_and_b64 s[2:3], s[2:3], s[0:1]
	v_add_u32_e32 v80, 0x43, v65
	v_pk_add_f32 v[34:35], v[34:35], v[54:55]
	v_pk_add_f32 v[36:37], v[36:37], v[46:47]
	v_max_f32_e32 v63, 0, v63
	v_max_f32_e32 v62, 0, v62
	;; [unrolled: 1-line block ×15, first 2 shown]
	s_waitcnt vmcnt(2)
	v_cndmask_b32_e64 v47, 0, v69, s[2:3]
	v_cndmask_b32_e64 v46, 0, v68, s[2:3]
	;; [unrolled: 1-line block ×4, first 2 shown]
	v_cmp_gt_i32_e64 s[2:3], s10, v80
	s_and_b64 vcc, s[2:3], vcc
	v_pk_add_f32 v[44:45], v[44:45], v[54:55]
	v_pk_add_f32 v[46:47], v[48:49], v[46:47]
	s_lshl_b32 s10, s6, 8
	v_max_f32_e32 v47, 0, v47
	v_max_f32_e32 v46, 0, v46
	;; [unrolled: 1-line block ×3, first 2 shown]
	s_waitcnt vmcnt(1)
	v_cndmask_b32_e32 v49, 0, v73, vcc
	v_cndmask_b32_e32 v48, 0, v72, vcc
	v_cndmask_b32_e32 v55, 0, v71, vcc
	v_cndmask_b32_e32 v54, 0, v70, vcc
	s_and_b64 vcc, s[2:3], s[0:1]
	v_pk_add_f32 v[32:33], v[32:33], v[48:49]
	s_waitcnt vmcnt(0)
	v_cndmask_b32_e32 v49, 0, v77, vcc
	v_cndmask_b32_e32 v48, 0, v76, vcc
	v_pk_add_f32 v[28:29], v[28:29], v[48:49]
	v_max_f32_e32 v68, 0, v28
	v_mul_lo_u32 v28, v65, s6
	v_max_f32_e32 v69, 0, v29
	v_mad_u64_u32 v[28:29], s[0:1], v64, s7, v[28:29]
	v_pk_add_f32 v[30:31], v[30:31], v[54:55]
	v_cndmask_b32_e32 v55, 0, v75, vcc
	v_cndmask_b32_e32 v54, 0, v74, vcc
	v_cmp_gt_i32_e32 vcc, s12, v64
	v_cmp_gt_i32_e64 s[0:1], s9, v65
	v_pk_add_f32 v[38:39], v[38:39], v[54:55]
	v_bfrev_b32_e32 v29, 1
	s_and_b64 s[2:3], s[0:1], vcc
	v_max_f32_e32 v66, 0, v38
	v_cndmask_b32_e64 v38, v29, 0, s[2:3]
	v_cmp_gt_i32_e64 s[2:3], s12, v100
	v_lshl_add_u32 v38, v28, 2, v38
	s_and_b64 s[0:1], s[0:1], s[2:3]
	buffer_store_dwordx4 v[0:3], v38, s[16:19], 0 offen
	v_max_f32_e32 v33, 0, v33
	v_add_u32_e32 v0, s8, v28
	v_cndmask_b32_e64 v1, v29, 0, s[0:1]
	v_cmp_gt_i32_e64 s[0:1], s9, v101
	v_lshl_add_u32 v1, v0, 2, v1
	s_and_b64 s[4:5], s[0:1], s[2:3]
	buffer_store_dwordx4 v[4:7], v1, s[16:19], 0 offen
	v_add_u32_e32 v0, s6, v0
	v_cndmask_b32_e64 v1, v29, 0, s[4:5]
	v_lshl_add_u32 v1, v0, 2, v1
	s_and_b64 s[0:1], s[0:1], vcc
	buffer_store_dwordx4 v[12:15], v1, s[16:19], 0 offen
	v_add_u32_e32 v1, s6, v28
	v_cndmask_b32_e64 v2, v29, 0, s[0:1]
	v_cmp_gt_i32_e64 s[0:1], s9, v102
	v_lshl_add_u32 v2, v1, 2, v2
	s_and_b64 s[4:5], s[0:1], vcc
	buffer_store_dwordx4 v[8:11], v2, s[16:19], 0 offen
	v_add_u32_e32 v1, s6, v1
	v_cndmask_b32_e64 v2, v29, 0, s[4:5]
	v_lshl_add_u32 v1, v1, 2, v2
	s_and_b64 s[0:1], s[0:1], s[2:3]
	buffer_store_dwordx4 v[16:19], v1, s[16:19], 0 offen
	v_add_u32_e32 v0, s6, v0
	v_cndmask_b32_e64 v1, v29, 0, s[0:1]
	v_cmp_gt_i32_e64 s[0:1], s9, v103
	v_lshl_add_u32 v1, v0, 2, v1
	s_and_b64 s[4:5], s[0:1], s[2:3]
	buffer_store_dwordx4 v[20:23], v1, s[16:19], 0 offen
	v_add_u32_e32 v0, s6, v0
	v_cndmask_b32_e64 v1, v29, 0, s[4:5]
	v_lshl_add_u32 v1, v0, 2, v1
	v_subrev_u32_e32 v0, s8, v0
	s_and_b64 s[0:1], s[0:1], vcc
	buffer_store_dwordx4 v[60:63], v1, s[16:19], 0 offen
	v_lshlrev_b32_e32 v1, 2, v0
	v_cndmask_b32_e64 v2, v29, 0, s[0:1]
	v_cmp_gt_i32_e64 s[0:1], s9, v80
	v_add_u32_e32 v2, v1, v2
	s_and_b64 s[4:5], s[0:1], vcc
	buffer_store_dwordx4 v[24:27], v2, s[16:19], 0 offen
	v_cndmask_b32_e64 v2, v29, 0, s[4:5]
	v_max_f32_e32 v32, 0, v32
	v_max_f32_e32 v31, 0, v31
	;; [unrolled: 1-line block ×3, first 2 shown]
	v_add3_u32 v1, v2, s10, v1
	s_add_i32 s4, s7, s6
	s_and_b64 s[0:1], s[0:1], s[2:3]
	buffer_store_dwordx4 v[30:33], v1, s[16:19], 0 offen
	v_lshl_add_u32 v0, s4, 6, v0
	v_cndmask_b32_e64 v1, v29, 0, s[0:1]
	v_cmp_ge_i32_e64 s[0:1], s9, v80
	v_max_f32_e32 v67, 0, v39
	v_lshl_add_u32 v1, v0, 2, v1
	s_and_b64 s[0:1], s[0:1], s[2:3]
	buffer_store_dwordx4 v[66:69], v1, s[16:19], 0 offen
	v_subrev_u32_e32 v0, s6, v0
	v_cndmask_b32_e64 v1, v29, 0, s[0:1]
	v_cmp_gt_i32_e64 s[0:1], s9, v79
	v_max_f32_e32 v44, 0, v44
	v_lshl_add_u32 v1, v0, 2, v1
	s_and_b64 s[0:1], s[0:1], vcc
	buffer_store_dwordx4 v[44:47], v1, s[16:19], 0 offen
	v_subrev_u32_e32 v0, s8, v0
	v_cndmask_b32_e64 v1, v29, 0, s[0:1]
	v_cmp_ge_i32_e64 s[0:1], s9, v79
	v_lshl_add_u32 v1, v0, 2, v1
	s_and_b64 s[0:1], s[0:1], vcc
	buffer_store_dwordx4 v[34:37], v1, s[16:19], 0 offen
	v_subrev_u32_e32 v0, s6, v0
	v_cndmask_b32_e64 v1, v29, 0, s[0:1]
	v_cmp_gt_i32_e64 s[0:1], s9, v78
	v_max_f32_e32 v40, 0, v40
	v_lshl_add_u32 v1, v0, 2, v1
	s_and_b64 s[0:1], s[0:1], s[2:3]
	buffer_store_dwordx4 v[40:43], v1, s[16:19], 0 offen
	v_add_u32_e32 v0, s8, v0
	v_cndmask_b32_e64 v1, v29, 0, s[0:1]
	v_cmp_ge_i32_e64 s[0:1], s9, v78
	v_max_f32_e32 v51, 0, v51
	v_max_f32_e32 v50, 0, v50
	v_lshl_add_u32 v1, v0, 2, v1
	v_subrev_u32_e32 v0, s6, v0
	s_and_b64 s[0:1], s[0:1], s[2:3]
	buffer_store_dwordx4 v[50:53], v1, s[16:19], 0 offen
	v_lshlrev_b32_e32 v0, 2, v0
	v_cndmask_b32_e64 v1, v29, 0, s[0:1]
	v_cmp_gt_i32_e64 s[0:1], s9, v104
	v_add_u32_e32 v1, v0, v1
	s_and_b64 s[0:1], s[0:1], vcc
	buffer_store_dwordx4 v[56:59], v1, s[16:19], 0 offen
	v_cndmask_b32_e64 v1, v29, 0, s[0:1]
	s_lshl_b32 s0, s7, 8
	v_subrev_u32_e32 v1, s0, v1
	v_add_u32_e32 v0, v1, v0
	buffer_store_dwordx4 v[96:99], v0, s[16:19], 0 offen
	s_endpgm
	.section	.rodata,"a",@progbits
	.p2align	6, 0x0
	.amdhsa_kernel _ZN2ck16tensor_operation6device12_GLOBAL__N_137kernel_grouped_conv_fwd_dl_multiple_dINS_32GridwiseGemmDlMultipleD_km_kn_mnILi256EffNS_5TupleIJfEEEfNS0_12element_wise11PassThroughES8_NS7_7AddReluELNS_25InMemoryDataOperationEnumE0ENS_16TensorDescriptorINS5_IJNS_5EmbedINS5_IJiiiEEESD_Lb0EEENS_11PassThroughIiEENS_3PadIiiiLb0EEESG_SG_NSC_INS5_IJiiEEESJ_Lb0EEESG_NS_23Merge_v2_magic_divisionISJ_EESM_NS_8RightPadIiiLb0EEESO_NS_7UnMergeISJ_Lb0EEESG_EEENS5_IJNS_8SequenceIJLi0EEEENSS_IJLi1EEEENSS_IJLi2EEEENSS_IJLi3EEEENSS_IJLi4EEEENSS_IJLi5EEEENSS_IJLi6EEEENSS_IJLi7ELi9EEEENSS_IJLi8ELi10EEEENSS_IJLi11EEEENSS_IJLi12EEEENSS_IJLi14EEEENSS_IJLi13EEEEEEENS5_IJNSS_IJLi1ELi2ELi3EEEESX_SY_SZ_NSS_IJLi7EEEENSS_IJLi8ELi9EEEENSS_IJLi10EEEES12_S13_S15_S14_NSS_IJLi15ELi16EEEENSS_IJLi17EEEEEEENSS_IJLi15ELi17ELi16EEEElEENSB_INS5_IJSQ_SO_SO_SQ_SG_EEENS5_IJST_SU_SV_SX_SW_EEENS5_IJNSS_IJLi1ELi2EEEESW_SX_NSS_IJLi5ELi6EEEES18_EEENSS_IJLi5ELi7ELi6EEEElEENSB_INS5_IJSK_SO_SO_EEENS5_IJST_SU_SV_EEENS5_IJS1I_SW_SX_EEENSS_IJLi3ELi4EEEElEELi128ELi128ELi16ELi1ELi4ELi4ELi1ENSS_IJLi8ELi2EEEES1S_NSS_IJLi8ELi1ELi1ELi1EEEENSS_IJLi2ELi1ELi128ELi1EEEENSS_IJLi1ELi2ELi0ELi3EEEES1V_NSS_IJLi4ELi1ELi1ELi1EEEES1V_NSS_IJLi1ELi1ELi1ELi1EEEES1T_S1U_S1V_S1V_S1W_S1V_S1X_NSS_IJLi0ELi1ELi2ELi3ELi4ELi5EEEELi5ELi4EEEfNS5_IJPKfEEEfS8_S8_S9_NSB_INS5_IJSE_SG_SI_SG_SG_SK_SG_SM_SM_SO_SO_SQ_SG_SG_NSP_INS5_IJiNS_17integral_constantIiLi128EEEEEELb0EEENSF_INS23_IiLi1EEEEEEEENS5_IJST_SU_SV_SW_SX_SY_SZ_S10_S11_S12_S13_S14_S15_NSS_IJLi15EEEES1C_NSS_IJLi16EEEEEEENS5_IJS17_SX_SY_SZ_S18_S19_S1A_S12_S13_S15_S14_S1B_S1C_NSS_IJLi18EEEENSS_IJLi19ELi20EEEENSS_IJLi21EEEEEEENSS_IJLi18ELi19ELi20ELi21EEEElEENSB_INS5_IJSQ_SO_SO_SQ_SG_SG_S26_S28_EEENS5_IJST_SU_SV_SX_SW_SY_S18_SZ_EEENS5_IJS1I_SW_SX_S1J_S18_NSS_IJLi8EEEENSS_IJLi9ELi10EEEES12_EEENSS_IJLi8ELi9ELi10ELi11EEEElEENS5_IJNSB_INS5_IJSK_SO_SO_NSP_INS5_IJiNS23_IiLi2EEENS23_IiLi64EEEEEELb0EEES2T_EEENS5_IJST_SU_SV_SW_SX_EEENS5_IJS1I_SW_SX_NSS_IJLi5ELi6ELi7EEEENSS_IJLi8ELi9ELi10EEEEEEENSS_IJLi5ELi6ELi7ELi8ELi9ELi10EEEElEEEEES30_NS_31BlockToCTileMap_M00_N00_M01_N01ILi128ELi128ES1R_Lb0EEENS1_30ComputePtrOffsetOfStridedBatchILi1ELi1ELi1EvEELb0ELb0EEEvPKT0_S38_T1_PT2_T3_T4_T5_iT6_T7_T8_T9_T10_T11_
		.amdhsa_group_segment_fixed_size 32768
		.amdhsa_private_segment_fixed_size 0
		.amdhsa_kernarg_size 904
		.amdhsa_user_sgpr_count 6
		.amdhsa_user_sgpr_private_segment_buffer 1
		.amdhsa_user_sgpr_dispatch_ptr 0
		.amdhsa_user_sgpr_queue_ptr 0
		.amdhsa_user_sgpr_kernarg_segment_ptr 1
		.amdhsa_user_sgpr_dispatch_id 0
		.amdhsa_user_sgpr_flat_scratch_init 0
		.amdhsa_user_sgpr_kernarg_preload_length 0
		.amdhsa_user_sgpr_kernarg_preload_offset 0
		.amdhsa_user_sgpr_private_segment_size 0
		.amdhsa_uses_dynamic_stack 0
		.amdhsa_system_sgpr_private_segment_wavefront_offset 0
		.amdhsa_system_sgpr_workgroup_id_x 1
		.amdhsa_system_sgpr_workgroup_id_y 0
		.amdhsa_system_sgpr_workgroup_id_z 0
		.amdhsa_system_sgpr_workgroup_info 0
		.amdhsa_system_vgpr_workitem_id 0
		.amdhsa_next_free_vgpr 105
		.amdhsa_next_free_sgpr 62
		.amdhsa_accum_offset 108
		.amdhsa_reserve_vcc 1
		.amdhsa_reserve_flat_scratch 0
		.amdhsa_float_round_mode_32 0
		.amdhsa_float_round_mode_16_64 0
		.amdhsa_float_denorm_mode_32 3
		.amdhsa_float_denorm_mode_16_64 3
		.amdhsa_dx10_clamp 1
		.amdhsa_ieee_mode 1
		.amdhsa_fp16_overflow 0
		.amdhsa_tg_split 0
		.amdhsa_exception_fp_ieee_invalid_op 0
		.amdhsa_exception_fp_denorm_src 0
		.amdhsa_exception_fp_ieee_div_zero 0
		.amdhsa_exception_fp_ieee_overflow 0
		.amdhsa_exception_fp_ieee_underflow 0
		.amdhsa_exception_fp_ieee_inexact 0
		.amdhsa_exception_int_div_zero 0
	.end_amdhsa_kernel
	.section	.text._ZN2ck16tensor_operation6device12_GLOBAL__N_137kernel_grouped_conv_fwd_dl_multiple_dINS_32GridwiseGemmDlMultipleD_km_kn_mnILi256EffNS_5TupleIJfEEEfNS0_12element_wise11PassThroughES8_NS7_7AddReluELNS_25InMemoryDataOperationEnumE0ENS_16TensorDescriptorINS5_IJNS_5EmbedINS5_IJiiiEEESD_Lb0EEENS_11PassThroughIiEENS_3PadIiiiLb0EEESG_SG_NSC_INS5_IJiiEEESJ_Lb0EEESG_NS_23Merge_v2_magic_divisionISJ_EESM_NS_8RightPadIiiLb0EEESO_NS_7UnMergeISJ_Lb0EEESG_EEENS5_IJNS_8SequenceIJLi0EEEENSS_IJLi1EEEENSS_IJLi2EEEENSS_IJLi3EEEENSS_IJLi4EEEENSS_IJLi5EEEENSS_IJLi6EEEENSS_IJLi7ELi9EEEENSS_IJLi8ELi10EEEENSS_IJLi11EEEENSS_IJLi12EEEENSS_IJLi14EEEENSS_IJLi13EEEEEEENS5_IJNSS_IJLi1ELi2ELi3EEEESX_SY_SZ_NSS_IJLi7EEEENSS_IJLi8ELi9EEEENSS_IJLi10EEEES12_S13_S15_S14_NSS_IJLi15ELi16EEEENSS_IJLi17EEEEEEENSS_IJLi15ELi17ELi16EEEElEENSB_INS5_IJSQ_SO_SO_SQ_SG_EEENS5_IJST_SU_SV_SX_SW_EEENS5_IJNSS_IJLi1ELi2EEEESW_SX_NSS_IJLi5ELi6EEEES18_EEENSS_IJLi5ELi7ELi6EEEElEENSB_INS5_IJSK_SO_SO_EEENS5_IJST_SU_SV_EEENS5_IJS1I_SW_SX_EEENSS_IJLi3ELi4EEEElEELi128ELi128ELi16ELi1ELi4ELi4ELi1ENSS_IJLi8ELi2EEEES1S_NSS_IJLi8ELi1ELi1ELi1EEEENSS_IJLi2ELi1ELi128ELi1EEEENSS_IJLi1ELi2ELi0ELi3EEEES1V_NSS_IJLi4ELi1ELi1ELi1EEEES1V_NSS_IJLi1ELi1ELi1ELi1EEEES1T_S1U_S1V_S1V_S1W_S1V_S1X_NSS_IJLi0ELi1ELi2ELi3ELi4ELi5EEEELi5ELi4EEEfNS5_IJPKfEEEfS8_S8_S9_NSB_INS5_IJSE_SG_SI_SG_SG_SK_SG_SM_SM_SO_SO_SQ_SG_SG_NSP_INS5_IJiNS_17integral_constantIiLi128EEEEEELb0EEENSF_INS23_IiLi1EEEEEEEENS5_IJST_SU_SV_SW_SX_SY_SZ_S10_S11_S12_S13_S14_S15_NSS_IJLi15EEEES1C_NSS_IJLi16EEEEEEENS5_IJS17_SX_SY_SZ_S18_S19_S1A_S12_S13_S15_S14_S1B_S1C_NSS_IJLi18EEEENSS_IJLi19ELi20EEEENSS_IJLi21EEEEEEENSS_IJLi18ELi19ELi20ELi21EEEElEENSB_INS5_IJSQ_SO_SO_SQ_SG_SG_S26_S28_EEENS5_IJST_SU_SV_SX_SW_SY_S18_SZ_EEENS5_IJS1I_SW_SX_S1J_S18_NSS_IJLi8EEEENSS_IJLi9ELi10EEEES12_EEENSS_IJLi8ELi9ELi10ELi11EEEElEENS5_IJNSB_INS5_IJSK_SO_SO_NSP_INS5_IJiNS23_IiLi2EEENS23_IiLi64EEEEEELb0EEES2T_EEENS5_IJST_SU_SV_SW_SX_EEENS5_IJS1I_SW_SX_NSS_IJLi5ELi6ELi7EEEENSS_IJLi8ELi9ELi10EEEEEEENSS_IJLi5ELi6ELi7ELi8ELi9ELi10EEEElEEEEES30_NS_31BlockToCTileMap_M00_N00_M01_N01ILi128ELi128ES1R_Lb0EEENS1_30ComputePtrOffsetOfStridedBatchILi1ELi1ELi1EvEELb0ELb0EEEvPKT0_S38_T1_PT2_T3_T4_T5_iT6_T7_T8_T9_T10_T11_,"axG",@progbits,_ZN2ck16tensor_operation6device12_GLOBAL__N_137kernel_grouped_conv_fwd_dl_multiple_dINS_32GridwiseGemmDlMultipleD_km_kn_mnILi256EffNS_5TupleIJfEEEfNS0_12element_wise11PassThroughES8_NS7_7AddReluELNS_25InMemoryDataOperationEnumE0ENS_16TensorDescriptorINS5_IJNS_5EmbedINS5_IJiiiEEESD_Lb0EEENS_11PassThroughIiEENS_3PadIiiiLb0EEESG_SG_NSC_INS5_IJiiEEESJ_Lb0EEESG_NS_23Merge_v2_magic_divisionISJ_EESM_NS_8RightPadIiiLb0EEESO_NS_7UnMergeISJ_Lb0EEESG_EEENS5_IJNS_8SequenceIJLi0EEEENSS_IJLi1EEEENSS_IJLi2EEEENSS_IJLi3EEEENSS_IJLi4EEEENSS_IJLi5EEEENSS_IJLi6EEEENSS_IJLi7ELi9EEEENSS_IJLi8ELi10EEEENSS_IJLi11EEEENSS_IJLi12EEEENSS_IJLi14EEEENSS_IJLi13EEEEEEENS5_IJNSS_IJLi1ELi2ELi3EEEESX_SY_SZ_NSS_IJLi7EEEENSS_IJLi8ELi9EEEENSS_IJLi10EEEES12_S13_S15_S14_NSS_IJLi15ELi16EEEENSS_IJLi17EEEEEEENSS_IJLi15ELi17ELi16EEEElEENSB_INS5_IJSQ_SO_SO_SQ_SG_EEENS5_IJST_SU_SV_SX_SW_EEENS5_IJNSS_IJLi1ELi2EEEESW_SX_NSS_IJLi5ELi6EEEES18_EEENSS_IJLi5ELi7ELi6EEEElEENSB_INS5_IJSK_SO_SO_EEENS5_IJST_SU_SV_EEENS5_IJS1I_SW_SX_EEENSS_IJLi3ELi4EEEElEELi128ELi128ELi16ELi1ELi4ELi4ELi1ENSS_IJLi8ELi2EEEES1S_NSS_IJLi8ELi1ELi1ELi1EEEENSS_IJLi2ELi1ELi128ELi1EEEENSS_IJLi1ELi2ELi0ELi3EEEES1V_NSS_IJLi4ELi1ELi1ELi1EEEES1V_NSS_IJLi1ELi1ELi1ELi1EEEES1T_S1U_S1V_S1V_S1W_S1V_S1X_NSS_IJLi0ELi1ELi2ELi3ELi4ELi5EEEELi5ELi4EEEfNS5_IJPKfEEEfS8_S8_S9_NSB_INS5_IJSE_SG_SI_SG_SG_SK_SG_SM_SM_SO_SO_SQ_SG_SG_NSP_INS5_IJiNS_17integral_constantIiLi128EEEEEELb0EEENSF_INS23_IiLi1EEEEEEEENS5_IJST_SU_SV_SW_SX_SY_SZ_S10_S11_S12_S13_S14_S15_NSS_IJLi15EEEES1C_NSS_IJLi16EEEEEEENS5_IJS17_SX_SY_SZ_S18_S19_S1A_S12_S13_S15_S14_S1B_S1C_NSS_IJLi18EEEENSS_IJLi19ELi20EEEENSS_IJLi21EEEEEEENSS_IJLi18ELi19ELi20ELi21EEEElEENSB_INS5_IJSQ_SO_SO_SQ_SG_SG_S26_S28_EEENS5_IJST_SU_SV_SX_SW_SY_S18_SZ_EEENS5_IJS1I_SW_SX_S1J_S18_NSS_IJLi8EEEENSS_IJLi9ELi10EEEES12_EEENSS_IJLi8ELi9ELi10ELi11EEEElEENS5_IJNSB_INS5_IJSK_SO_SO_NSP_INS5_IJiNS23_IiLi2EEENS23_IiLi64EEEEEELb0EEES2T_EEENS5_IJST_SU_SV_SW_SX_EEENS5_IJS1I_SW_SX_NSS_IJLi5ELi6ELi7EEEENSS_IJLi8ELi9ELi10EEEEEEENSS_IJLi5ELi6ELi7ELi8ELi9ELi10EEEElEEEEES30_NS_31BlockToCTileMap_M00_N00_M01_N01ILi128ELi128ES1R_Lb0EEENS1_30ComputePtrOffsetOfStridedBatchILi1ELi1ELi1EvEELb0ELb0EEEvPKT0_S38_T1_PT2_T3_T4_T5_iT6_T7_T8_T9_T10_T11_,comdat
.Lfunc_end6:
	.size	_ZN2ck16tensor_operation6device12_GLOBAL__N_137kernel_grouped_conv_fwd_dl_multiple_dINS_32GridwiseGemmDlMultipleD_km_kn_mnILi256EffNS_5TupleIJfEEEfNS0_12element_wise11PassThroughES8_NS7_7AddReluELNS_25InMemoryDataOperationEnumE0ENS_16TensorDescriptorINS5_IJNS_5EmbedINS5_IJiiiEEESD_Lb0EEENS_11PassThroughIiEENS_3PadIiiiLb0EEESG_SG_NSC_INS5_IJiiEEESJ_Lb0EEESG_NS_23Merge_v2_magic_divisionISJ_EESM_NS_8RightPadIiiLb0EEESO_NS_7UnMergeISJ_Lb0EEESG_EEENS5_IJNS_8SequenceIJLi0EEEENSS_IJLi1EEEENSS_IJLi2EEEENSS_IJLi3EEEENSS_IJLi4EEEENSS_IJLi5EEEENSS_IJLi6EEEENSS_IJLi7ELi9EEEENSS_IJLi8ELi10EEEENSS_IJLi11EEEENSS_IJLi12EEEENSS_IJLi14EEEENSS_IJLi13EEEEEEENS5_IJNSS_IJLi1ELi2ELi3EEEESX_SY_SZ_NSS_IJLi7EEEENSS_IJLi8ELi9EEEENSS_IJLi10EEEES12_S13_S15_S14_NSS_IJLi15ELi16EEEENSS_IJLi17EEEEEEENSS_IJLi15ELi17ELi16EEEElEENSB_INS5_IJSQ_SO_SO_SQ_SG_EEENS5_IJST_SU_SV_SX_SW_EEENS5_IJNSS_IJLi1ELi2EEEESW_SX_NSS_IJLi5ELi6EEEES18_EEENSS_IJLi5ELi7ELi6EEEElEENSB_INS5_IJSK_SO_SO_EEENS5_IJST_SU_SV_EEENS5_IJS1I_SW_SX_EEENSS_IJLi3ELi4EEEElEELi128ELi128ELi16ELi1ELi4ELi4ELi1ENSS_IJLi8ELi2EEEES1S_NSS_IJLi8ELi1ELi1ELi1EEEENSS_IJLi2ELi1ELi128ELi1EEEENSS_IJLi1ELi2ELi0ELi3EEEES1V_NSS_IJLi4ELi1ELi1ELi1EEEES1V_NSS_IJLi1ELi1ELi1ELi1EEEES1T_S1U_S1V_S1V_S1W_S1V_S1X_NSS_IJLi0ELi1ELi2ELi3ELi4ELi5EEEELi5ELi4EEEfNS5_IJPKfEEEfS8_S8_S9_NSB_INS5_IJSE_SG_SI_SG_SG_SK_SG_SM_SM_SO_SO_SQ_SG_SG_NSP_INS5_IJiNS_17integral_constantIiLi128EEEEEELb0EEENSF_INS23_IiLi1EEEEEEEENS5_IJST_SU_SV_SW_SX_SY_SZ_S10_S11_S12_S13_S14_S15_NSS_IJLi15EEEES1C_NSS_IJLi16EEEEEEENS5_IJS17_SX_SY_SZ_S18_S19_S1A_S12_S13_S15_S14_S1B_S1C_NSS_IJLi18EEEENSS_IJLi19ELi20EEEENSS_IJLi21EEEEEEENSS_IJLi18ELi19ELi20ELi21EEEElEENSB_INS5_IJSQ_SO_SO_SQ_SG_SG_S26_S28_EEENS5_IJST_SU_SV_SX_SW_SY_S18_SZ_EEENS5_IJS1I_SW_SX_S1J_S18_NSS_IJLi8EEEENSS_IJLi9ELi10EEEES12_EEENSS_IJLi8ELi9ELi10ELi11EEEElEENS5_IJNSB_INS5_IJSK_SO_SO_NSP_INS5_IJiNS23_IiLi2EEENS23_IiLi64EEEEEELb0EEES2T_EEENS5_IJST_SU_SV_SW_SX_EEENS5_IJS1I_SW_SX_NSS_IJLi5ELi6ELi7EEEENSS_IJLi8ELi9ELi10EEEEEEENSS_IJLi5ELi6ELi7ELi8ELi9ELi10EEEElEEEEES30_NS_31BlockToCTileMap_M00_N00_M01_N01ILi128ELi128ES1R_Lb0EEENS1_30ComputePtrOffsetOfStridedBatchILi1ELi1ELi1EvEELb0ELb0EEEvPKT0_S38_T1_PT2_T3_T4_T5_iT6_T7_T8_T9_T10_T11_, .Lfunc_end6-_ZN2ck16tensor_operation6device12_GLOBAL__N_137kernel_grouped_conv_fwd_dl_multiple_dINS_32GridwiseGemmDlMultipleD_km_kn_mnILi256EffNS_5TupleIJfEEEfNS0_12element_wise11PassThroughES8_NS7_7AddReluELNS_25InMemoryDataOperationEnumE0ENS_16TensorDescriptorINS5_IJNS_5EmbedINS5_IJiiiEEESD_Lb0EEENS_11PassThroughIiEENS_3PadIiiiLb0EEESG_SG_NSC_INS5_IJiiEEESJ_Lb0EEESG_NS_23Merge_v2_magic_divisionISJ_EESM_NS_8RightPadIiiLb0EEESO_NS_7UnMergeISJ_Lb0EEESG_EEENS5_IJNS_8SequenceIJLi0EEEENSS_IJLi1EEEENSS_IJLi2EEEENSS_IJLi3EEEENSS_IJLi4EEEENSS_IJLi5EEEENSS_IJLi6EEEENSS_IJLi7ELi9EEEENSS_IJLi8ELi10EEEENSS_IJLi11EEEENSS_IJLi12EEEENSS_IJLi14EEEENSS_IJLi13EEEEEEENS5_IJNSS_IJLi1ELi2ELi3EEEESX_SY_SZ_NSS_IJLi7EEEENSS_IJLi8ELi9EEEENSS_IJLi10EEEES12_S13_S15_S14_NSS_IJLi15ELi16EEEENSS_IJLi17EEEEEEENSS_IJLi15ELi17ELi16EEEElEENSB_INS5_IJSQ_SO_SO_SQ_SG_EEENS5_IJST_SU_SV_SX_SW_EEENS5_IJNSS_IJLi1ELi2EEEESW_SX_NSS_IJLi5ELi6EEEES18_EEENSS_IJLi5ELi7ELi6EEEElEENSB_INS5_IJSK_SO_SO_EEENS5_IJST_SU_SV_EEENS5_IJS1I_SW_SX_EEENSS_IJLi3ELi4EEEElEELi128ELi128ELi16ELi1ELi4ELi4ELi1ENSS_IJLi8ELi2EEEES1S_NSS_IJLi8ELi1ELi1ELi1EEEENSS_IJLi2ELi1ELi128ELi1EEEENSS_IJLi1ELi2ELi0ELi3EEEES1V_NSS_IJLi4ELi1ELi1ELi1EEEES1V_NSS_IJLi1ELi1ELi1ELi1EEEES1T_S1U_S1V_S1V_S1W_S1V_S1X_NSS_IJLi0ELi1ELi2ELi3ELi4ELi5EEEELi5ELi4EEEfNS5_IJPKfEEEfS8_S8_S9_NSB_INS5_IJSE_SG_SI_SG_SG_SK_SG_SM_SM_SO_SO_SQ_SG_SG_NSP_INS5_IJiNS_17integral_constantIiLi128EEEEEELb0EEENSF_INS23_IiLi1EEEEEEEENS5_IJST_SU_SV_SW_SX_SY_SZ_S10_S11_S12_S13_S14_S15_NSS_IJLi15EEEES1C_NSS_IJLi16EEEEEEENS5_IJS17_SX_SY_SZ_S18_S19_S1A_S12_S13_S15_S14_S1B_S1C_NSS_IJLi18EEEENSS_IJLi19ELi20EEEENSS_IJLi21EEEEEEENSS_IJLi18ELi19ELi20ELi21EEEElEENSB_INS5_IJSQ_SO_SO_SQ_SG_SG_S26_S28_EEENS5_IJST_SU_SV_SX_SW_SY_S18_SZ_EEENS5_IJS1I_SW_SX_S1J_S18_NSS_IJLi8EEEENSS_IJLi9ELi10EEEES12_EEENSS_IJLi8ELi9ELi10ELi11EEEElEENS5_IJNSB_INS5_IJSK_SO_SO_NSP_INS5_IJiNS23_IiLi2EEENS23_IiLi64EEEEEELb0EEES2T_EEENS5_IJST_SU_SV_SW_SX_EEENS5_IJS1I_SW_SX_NSS_IJLi5ELi6ELi7EEEENSS_IJLi8ELi9ELi10EEEEEEENSS_IJLi5ELi6ELi7ELi8ELi9ELi10EEEElEEEEES30_NS_31BlockToCTileMap_M00_N00_M01_N01ILi128ELi128ES1R_Lb0EEENS1_30ComputePtrOffsetOfStridedBatchILi1ELi1ELi1EvEELb0ELb0EEEvPKT0_S38_T1_PT2_T3_T4_T5_iT6_T7_T8_T9_T10_T11_
                                        ; -- End function
	.section	.AMDGPU.csdata,"",@progbits
; Kernel info:
; codeLenInByte = 12732
; NumSgprs: 66
; NumVgprs: 105
; NumAgprs: 0
; TotalNumVgprs: 105
; ScratchSize: 0
; MemoryBound: 0
; FloatMode: 240
; IeeeMode: 1
; LDSByteSize: 32768 bytes/workgroup (compile time only)
; SGPRBlocks: 8
; VGPRBlocks: 13
; NumSGPRsForWavesPerEU: 66
; NumVGPRsForWavesPerEU: 105
; AccumOffset: 108
; Occupancy: 2
; WaveLimiterHint : 0
; COMPUTE_PGM_RSRC2:SCRATCH_EN: 0
; COMPUTE_PGM_RSRC2:USER_SGPR: 6
; COMPUTE_PGM_RSRC2:TRAP_HANDLER: 0
; COMPUTE_PGM_RSRC2:TGID_X_EN: 1
; COMPUTE_PGM_RSRC2:TGID_Y_EN: 0
; COMPUTE_PGM_RSRC2:TGID_Z_EN: 0
; COMPUTE_PGM_RSRC2:TIDIG_COMP_CNT: 0
; COMPUTE_PGM_RSRC3_GFX90A:ACCUM_OFFSET: 26
; COMPUTE_PGM_RSRC3_GFX90A:TG_SPLIT: 0
	.text
	.p2align	2                               ; -- Begin function _ZN2ck32GridwiseGemmDlMultipleD_km_kn_mnILi256EffNS_5TupleIJfEEEfNS_16tensor_operation12element_wise11PassThroughES5_NS4_7AddReluELNS_25InMemoryDataOperationEnumE0ENS_16TensorDescriptorINS1_IJNS_5EmbedINS1_IJiiiiEEESA_Lb0EEENS_11PassThroughIiEENS_3PadIiiiLb0EEESF_SD_SD_NS9_INS1_IJiiEEESG_Lb0EEESH_SD_NS_23Merge_v2_magic_divisionINS1_IJiiiEEEEESK_NS_8RightPadIiiLb0EEESM_NS_7UnMergeISG_Lb0EEESD_EEENS1_IJNS_8SequenceIJLi0EEEENSQ_IJLi1EEEENSQ_IJLi2EEEENSQ_IJLi3EEEENSQ_IJLi4EEEENSQ_IJLi5EEEENSQ_IJLi6EEEENSQ_IJLi7EEEENSQ_IJLi8EEEENSQ_IJLi9ELi11ELi13EEEENSQ_IJLi10ELi12ELi14EEEENSQ_IJLi15EEEENSQ_IJLi16EEEENSQ_IJLi18EEEENSQ_IJLi17EEEEEEENS1_IJNSQ_IJLi1ELi2ELi3ELi4EEEESW_SX_SY_SZ_NSQ_IJLi9EEEENSQ_IJLi10ELi11EEEENSQ_IJLi12ELi13EEEENSQ_IJLi14EEEES12_S13_S15_S14_NSQ_IJLi19ELi20EEEENSQ_IJLi21EEEEEEENSQ_IJLi19ELi21ELi20EEEElEENS8_INS1_IJSO_SM_SM_SO_SD_EEENS1_IJSR_SS_ST_SV_SU_EEENS1_IJNSQ_IJLi1ELi2EEEESU_SV_NSQ_IJLi5ELi6EEEESY_EEENSQ_IJLi5ELi7ELi6EEEElEENS8_INS1_IJSH_SM_SM_EEENS1_IJSR_SS_ST_EEENS1_IJS1J_SU_SV_EEENSQ_IJLi3ELi4EEEElEELi128ELi128ELi16ELi1ELi4ELi4ELi1ENSQ_IJLi8ELi2EEEES1T_NSQ_IJLi8ELi1ELi1ELi1EEEENSQ_IJLi2ELi1ELi128ELi1EEEENSQ_IJLi1ELi2ELi0ELi3EEEES1W_NSQ_IJLi4ELi1ELi1ELi1EEEES1W_NSQ_IJLi1ELi1ELi1ELi1EEEES1U_S1V_S1W_S1W_S1X_S1W_S1Y_NSQ_IJLi0ELi1ELi2ELi3ELi4ELi5EEEELi5ELi4EE3RunINS1_IJNS8_INS1_IJSH_SM_SM_NSN_INS1_IJiNS_17integral_constantIiLi2EEENS22_IiLi64EEEEEELb0EEES26_EEENS1_IJSR_SS_ST_SU_SV_EEENS1_IJS1J_SU_SV_NSQ_IJLi5ELi6ELi7EEEENSQ_IJLi8ELi9ELi10EEEEEEENSQ_IJLi5ELi6ELi7ELi8ELi9ELi10EEEElEEEEELb1ELb1ENS_31BlockToCTileMap_M00_N00_M01_N01ILi128ELi128ES1S_Lb0EEEEEvPKfS2I_NS1_IJS2I_EEEPfPvRKS5_S2N_RKS6_RKNS8_INS1_IJSB_SD_SF_SF_SD_SD_SH_SH_SD_SK_SK_SM_SM_SO_SD_SD_NSN_INS1_IJiNS22_IiLi128EEEEEELb0EEENSC_INS22_IiLi1EEEEEEEENS1_IJSR_SS_ST_SU_SV_SW_SX_SY_SZ_S10_S11_S12_S13_S14_S15_NSQ_IJLi19EEEES1D_NSQ_IJLi20EEEEEEENS1_IJS17_SW_SX_SY_SZ_S18_S19_S1A_S1B_S12_S13_S15_S14_S1C_S1D_NSQ_IJLi22EEEENSQ_IJLi23ELi24EEEENSQ_IJLi25EEEEEEENSQ_IJLi22ELi23ELi24ELi25EEEElEERKNS8_INS1_IJSO_SM_SM_SO_SD_SD_S2S_S2U_EEENS1_IJSR_SS_ST_SV_SU_SW_SY_SX_EEENS1_IJS1J_SU_SV_S1K_SY_SZ_NSQ_IJLi9ELi10EEEENSQ_IJLi11EEEEEEENSQ_IJLi8ELi9ELi10ELi11EEEElEERKT_RKS2D_RKT2_NS22_IbXT0_EEENS22_IbXT1_EEE
	.type	_ZN2ck32GridwiseGemmDlMultipleD_km_kn_mnILi256EffNS_5TupleIJfEEEfNS_16tensor_operation12element_wise11PassThroughES5_NS4_7AddReluELNS_25InMemoryDataOperationEnumE0ENS_16TensorDescriptorINS1_IJNS_5EmbedINS1_IJiiiiEEESA_Lb0EEENS_11PassThroughIiEENS_3PadIiiiLb0EEESF_SD_SD_NS9_INS1_IJiiEEESG_Lb0EEESH_SD_NS_23Merge_v2_magic_divisionINS1_IJiiiEEEEESK_NS_8RightPadIiiLb0EEESM_NS_7UnMergeISG_Lb0EEESD_EEENS1_IJNS_8SequenceIJLi0EEEENSQ_IJLi1EEEENSQ_IJLi2EEEENSQ_IJLi3EEEENSQ_IJLi4EEEENSQ_IJLi5EEEENSQ_IJLi6EEEENSQ_IJLi7EEEENSQ_IJLi8EEEENSQ_IJLi9ELi11ELi13EEEENSQ_IJLi10ELi12ELi14EEEENSQ_IJLi15EEEENSQ_IJLi16EEEENSQ_IJLi18EEEENSQ_IJLi17EEEEEEENS1_IJNSQ_IJLi1ELi2ELi3ELi4EEEESW_SX_SY_SZ_NSQ_IJLi9EEEENSQ_IJLi10ELi11EEEENSQ_IJLi12ELi13EEEENSQ_IJLi14EEEES12_S13_S15_S14_NSQ_IJLi19ELi20EEEENSQ_IJLi21EEEEEEENSQ_IJLi19ELi21ELi20EEEElEENS8_INS1_IJSO_SM_SM_SO_SD_EEENS1_IJSR_SS_ST_SV_SU_EEENS1_IJNSQ_IJLi1ELi2EEEESU_SV_NSQ_IJLi5ELi6EEEESY_EEENSQ_IJLi5ELi7ELi6EEEElEENS8_INS1_IJSH_SM_SM_EEENS1_IJSR_SS_ST_EEENS1_IJS1J_SU_SV_EEENSQ_IJLi3ELi4EEEElEELi128ELi128ELi16ELi1ELi4ELi4ELi1ENSQ_IJLi8ELi2EEEES1T_NSQ_IJLi8ELi1ELi1ELi1EEEENSQ_IJLi2ELi1ELi128ELi1EEEENSQ_IJLi1ELi2ELi0ELi3EEEES1W_NSQ_IJLi4ELi1ELi1ELi1EEEES1W_NSQ_IJLi1ELi1ELi1ELi1EEEES1U_S1V_S1W_S1W_S1X_S1W_S1Y_NSQ_IJLi0ELi1ELi2ELi3ELi4ELi5EEEELi5ELi4EE3RunINS1_IJNS8_INS1_IJSH_SM_SM_NSN_INS1_IJiNS_17integral_constantIiLi2EEENS22_IiLi64EEEEEELb0EEES26_EEENS1_IJSR_SS_ST_SU_SV_EEENS1_IJS1J_SU_SV_NSQ_IJLi5ELi6ELi7EEEENSQ_IJLi8ELi9ELi10EEEEEEENSQ_IJLi5ELi6ELi7ELi8ELi9ELi10EEEElEEEEELb1ELb1ENS_31BlockToCTileMap_M00_N00_M01_N01ILi128ELi128ES1S_Lb0EEEEEvPKfS2I_NS1_IJS2I_EEEPfPvRKS5_S2N_RKS6_RKNS8_INS1_IJSB_SD_SF_SF_SD_SD_SH_SH_SD_SK_SK_SM_SM_SO_SD_SD_NSN_INS1_IJiNS22_IiLi128EEEEEELb0EEENSC_INS22_IiLi1EEEEEEEENS1_IJSR_SS_ST_SU_SV_SW_SX_SY_SZ_S10_S11_S12_S13_S14_S15_NSQ_IJLi19EEEES1D_NSQ_IJLi20EEEEEEENS1_IJS17_SW_SX_SY_SZ_S18_S19_S1A_S1B_S12_S13_S15_S14_S1C_S1D_NSQ_IJLi22EEEENSQ_IJLi23ELi24EEEENSQ_IJLi25EEEEEEENSQ_IJLi22ELi23ELi24ELi25EEEElEERKNS8_INS1_IJSO_SM_SM_SO_SD_SD_S2S_S2U_EEENS1_IJSR_SS_ST_SV_SU_SW_SY_SX_EEENS1_IJS1J_SU_SV_S1K_SY_SZ_NSQ_IJLi9ELi10EEEENSQ_IJLi11EEEEEEENSQ_IJLi8ELi9ELi10ELi11EEEElEERKT_RKS2D_RKT2_NS22_IbXT0_EEENS22_IbXT1_EEE,@function
_ZN2ck32GridwiseGemmDlMultipleD_km_kn_mnILi256EffNS_5TupleIJfEEEfNS_16tensor_operation12element_wise11PassThroughES5_NS4_7AddReluELNS_25InMemoryDataOperationEnumE0ENS_16TensorDescriptorINS1_IJNS_5EmbedINS1_IJiiiiEEESA_Lb0EEENS_11PassThroughIiEENS_3PadIiiiLb0EEESF_SD_SD_NS9_INS1_IJiiEEESG_Lb0EEESH_SD_NS_23Merge_v2_magic_divisionINS1_IJiiiEEEEESK_NS_8RightPadIiiLb0EEESM_NS_7UnMergeISG_Lb0EEESD_EEENS1_IJNS_8SequenceIJLi0EEEENSQ_IJLi1EEEENSQ_IJLi2EEEENSQ_IJLi3EEEENSQ_IJLi4EEEENSQ_IJLi5EEEENSQ_IJLi6EEEENSQ_IJLi7EEEENSQ_IJLi8EEEENSQ_IJLi9ELi11ELi13EEEENSQ_IJLi10ELi12ELi14EEEENSQ_IJLi15EEEENSQ_IJLi16EEEENSQ_IJLi18EEEENSQ_IJLi17EEEEEEENS1_IJNSQ_IJLi1ELi2ELi3ELi4EEEESW_SX_SY_SZ_NSQ_IJLi9EEEENSQ_IJLi10ELi11EEEENSQ_IJLi12ELi13EEEENSQ_IJLi14EEEES12_S13_S15_S14_NSQ_IJLi19ELi20EEEENSQ_IJLi21EEEEEEENSQ_IJLi19ELi21ELi20EEEElEENS8_INS1_IJSO_SM_SM_SO_SD_EEENS1_IJSR_SS_ST_SV_SU_EEENS1_IJNSQ_IJLi1ELi2EEEESU_SV_NSQ_IJLi5ELi6EEEESY_EEENSQ_IJLi5ELi7ELi6EEEElEENS8_INS1_IJSH_SM_SM_EEENS1_IJSR_SS_ST_EEENS1_IJS1J_SU_SV_EEENSQ_IJLi3ELi4EEEElEELi128ELi128ELi16ELi1ELi4ELi4ELi1ENSQ_IJLi8ELi2EEEES1T_NSQ_IJLi8ELi1ELi1ELi1EEEENSQ_IJLi2ELi1ELi128ELi1EEEENSQ_IJLi1ELi2ELi0ELi3EEEES1W_NSQ_IJLi4ELi1ELi1ELi1EEEES1W_NSQ_IJLi1ELi1ELi1ELi1EEEES1U_S1V_S1W_S1W_S1X_S1W_S1Y_NSQ_IJLi0ELi1ELi2ELi3ELi4ELi5EEEELi5ELi4EE3RunINS1_IJNS8_INS1_IJSH_SM_SM_NSN_INS1_IJiNS_17integral_constantIiLi2EEENS22_IiLi64EEEEEELb0EEES26_EEENS1_IJSR_SS_ST_SU_SV_EEENS1_IJS1J_SU_SV_NSQ_IJLi5ELi6ELi7EEEENSQ_IJLi8ELi9ELi10EEEEEEENSQ_IJLi5ELi6ELi7ELi8ELi9ELi10EEEElEEEEELb1ELb1ENS_31BlockToCTileMap_M00_N00_M01_N01ILi128ELi128ES1S_Lb0EEEEEvPKfS2I_NS1_IJS2I_EEEPfPvRKS5_S2N_RKS6_RKNS8_INS1_IJSB_SD_SF_SF_SD_SD_SH_SH_SD_SK_SK_SM_SM_SO_SD_SD_NSN_INS1_IJiNS22_IiLi128EEEEEELb0EEENSC_INS22_IiLi1EEEEEEEENS1_IJSR_SS_ST_SU_SV_SW_SX_SY_SZ_S10_S11_S12_S13_S14_S15_NSQ_IJLi19EEEES1D_NSQ_IJLi20EEEEEEENS1_IJS17_SW_SX_SY_SZ_S18_S19_S1A_S1B_S12_S13_S15_S14_S1C_S1D_NSQ_IJLi22EEEENSQ_IJLi23ELi24EEEENSQ_IJLi25EEEEEEENSQ_IJLi22ELi23ELi24ELi25EEEElEERKNS8_INS1_IJSO_SM_SM_SO_SD_SD_S2S_S2U_EEENS1_IJSR_SS_ST_SV_SU_SW_SY_SX_EEENS1_IJS1J_SU_SV_S1K_SY_SZ_NSQ_IJLi9ELi10EEEENSQ_IJLi11EEEEEEENSQ_IJLi8ELi9ELi10ELi11EEEElEERKT_RKS2D_RKT2_NS22_IbXT0_EEENS22_IbXT1_EEE: ; @_ZN2ck32GridwiseGemmDlMultipleD_km_kn_mnILi256EffNS_5TupleIJfEEEfNS_16tensor_operation12element_wise11PassThroughES5_NS4_7AddReluELNS_25InMemoryDataOperationEnumE0ENS_16TensorDescriptorINS1_IJNS_5EmbedINS1_IJiiiiEEESA_Lb0EEENS_11PassThroughIiEENS_3PadIiiiLb0EEESF_SD_SD_NS9_INS1_IJiiEEESG_Lb0EEESH_SD_NS_23Merge_v2_magic_divisionINS1_IJiiiEEEEESK_NS_8RightPadIiiLb0EEESM_NS_7UnMergeISG_Lb0EEESD_EEENS1_IJNS_8SequenceIJLi0EEEENSQ_IJLi1EEEENSQ_IJLi2EEEENSQ_IJLi3EEEENSQ_IJLi4EEEENSQ_IJLi5EEEENSQ_IJLi6EEEENSQ_IJLi7EEEENSQ_IJLi8EEEENSQ_IJLi9ELi11ELi13EEEENSQ_IJLi10ELi12ELi14EEEENSQ_IJLi15EEEENSQ_IJLi16EEEENSQ_IJLi18EEEENSQ_IJLi17EEEEEEENS1_IJNSQ_IJLi1ELi2ELi3ELi4EEEESW_SX_SY_SZ_NSQ_IJLi9EEEENSQ_IJLi10ELi11EEEENSQ_IJLi12ELi13EEEENSQ_IJLi14EEEES12_S13_S15_S14_NSQ_IJLi19ELi20EEEENSQ_IJLi21EEEEEEENSQ_IJLi19ELi21ELi20EEEElEENS8_INS1_IJSO_SM_SM_SO_SD_EEENS1_IJSR_SS_ST_SV_SU_EEENS1_IJNSQ_IJLi1ELi2EEEESU_SV_NSQ_IJLi5ELi6EEEESY_EEENSQ_IJLi5ELi7ELi6EEEElEENS8_INS1_IJSH_SM_SM_EEENS1_IJSR_SS_ST_EEENS1_IJS1J_SU_SV_EEENSQ_IJLi3ELi4EEEElEELi128ELi128ELi16ELi1ELi4ELi4ELi1ENSQ_IJLi8ELi2EEEES1T_NSQ_IJLi8ELi1ELi1ELi1EEEENSQ_IJLi2ELi1ELi128ELi1EEEENSQ_IJLi1ELi2ELi0ELi3EEEES1W_NSQ_IJLi4ELi1ELi1ELi1EEEES1W_NSQ_IJLi1ELi1ELi1ELi1EEEES1U_S1V_S1W_S1W_S1X_S1W_S1Y_NSQ_IJLi0ELi1ELi2ELi3ELi4ELi5EEEELi5ELi4EE3RunINS1_IJNS8_INS1_IJSH_SM_SM_NSN_INS1_IJiNS_17integral_constantIiLi2EEENS22_IiLi64EEEEEELb0EEES26_EEENS1_IJSR_SS_ST_SU_SV_EEENS1_IJS1J_SU_SV_NSQ_IJLi5ELi6ELi7EEEENSQ_IJLi8ELi9ELi10EEEEEEENSQ_IJLi5ELi6ELi7ELi8ELi9ELi10EEEElEEEEELb1ELb1ENS_31BlockToCTileMap_M00_N00_M01_N01ILi128ELi128ES1S_Lb0EEEEEvPKfS2I_NS1_IJS2I_EEEPfPvRKS5_S2N_RKS6_RKNS8_INS1_IJSB_SD_SF_SF_SD_SD_SH_SH_SD_SK_SK_SM_SM_SO_SD_SD_NSN_INS1_IJiNS22_IiLi128EEEEEELb0EEENSC_INS22_IiLi1EEEEEEEENS1_IJSR_SS_ST_SU_SV_SW_SX_SY_SZ_S10_S11_S12_S13_S14_S15_NSQ_IJLi19EEEES1D_NSQ_IJLi20EEEEEEENS1_IJS17_SW_SX_SY_SZ_S18_S19_S1A_S1B_S12_S13_S15_S14_S1C_S1D_NSQ_IJLi22EEEENSQ_IJLi23ELi24EEEENSQ_IJLi25EEEEEEENSQ_IJLi22ELi23ELi24ELi25EEEElEERKNS8_INS1_IJSO_SM_SM_SO_SD_SD_S2S_S2U_EEENS1_IJSR_SS_ST_SV_SU_SW_SY_SX_EEENS1_IJS1J_SU_SV_S1K_SY_SZ_NSQ_IJLi9ELi10EEEENSQ_IJLi11EEEEEEENSQ_IJLi8ELi9ELi10ELi11EEEElEERKT_RKS2D_RKT2_NS22_IbXT0_EEENS22_IbXT1_EEE
; %bb.0:
	s_waitcnt vmcnt(0) expcnt(0) lgkmcnt(0)
	v_accvgpr_write_b32 a4, v12
	v_accvgpr_write_b32 a5, v13
	v_mov_b32_e32 v21, v5
	v_mov_b32_e32 v20, v4
	;; [unrolled: 1-line block ×4, first 2 shown]
	flat_load_dwordx4 v[24:27], v[16:17] offset:68
	flat_load_dword v12, v[8:9] offset:216
	flat_load_dwordx2 v[0:1], v[8:9] offset:160
	flat_load_dwordx4 v[48:51], v[16:17] offset:88
	flat_load_dwordx4 v[36:39], v[16:17] offset:48
	flat_load_dwordx2 v[4:5], v[8:9] offset:172
	flat_load_dwordx2 v[54:55], v[8:9] offset:148
	flat_load_dwordx2 v[52:53], v[8:9] offset:76
	flat_load_dword v97, v[16:17] offset:36
	flat_load_dword v84, v[16:17] offset:20
	flat_load_dwordx2 v[70:71], v[8:9] offset:120
	flat_load_dwordx2 v[68:69], v[8:9] offset:132
	;; [unrolled: 1-line block ×4, first 2 shown]
	flat_load_dwordx4 v[32:35], v[8:9] offset:16
                                        ; kill: killed $vgpr16 killed $vgpr17
	flat_load_dwordx2 v[64:65], v[8:9] offset:52
	s_nop 0
	flat_load_dwordx4 v[16:19], v[8:9] offset:36
	flat_load_dword v85, v[8:9] offset:256
	flat_load_dword v83, v[8:9] offset:200
	;; [unrolled: 1-line block ×6, first 2 shown]
	flat_load_dwordx2 a[2:3], v[14:15] offset:72
	v_and_b32_e32 v31, 0x3ff, v31
	v_lshlrev_b32_e32 v13, 3, v31
	v_and_b32_e32 v93, 8, v13
	v_accvgpr_write_b32 a0, v14
	v_accvgpr_write_b32 a1, v15
	v_lshrrev_b32_e32 v80, 1, v31
	s_mov_b32 s26, 0
	s_waitcnt vmcnt(0) lgkmcnt(0)
	v_mul_hi_u32 v13, v27, s12
	v_mul_lo_u32 v27, v12, v93
	v_add_u32_e32 v13, s12, v13
	v_mul_hi_u32 v14, v27, v1
	v_lshrrev_b32_e32 v30, v51, v13
	v_add_u32_e32 v13, v27, v14
	v_mul_hi_u32 v14, v30, v26
	v_mul_lo_u32 v26, v30, v39
	v_lshrrev_b32_e32 v39, v5, v13
	v_add_u32_e32 v13, v30, v14
	v_lshrrev_b32_e32 v50, v50, v13
	v_mul_hi_u32 v25, v50, v25
	v_add_u32_e32 v25, v50, v25
	v_lshrrev_b32_e32 v96, v49, v25
	v_mul_hi_u32 v24, v96, v24
	v_add_u32_e32 v24, v96, v24
	v_mul_lo_u32 v25, v96, v37
	v_lshrrev_b32_e32 v37, v48, v24
	v_sub_u32_e32 v26, s12, v26
	v_mul_lo_u32 v38, v50, v38
	v_sub_u32_e32 v25, v50, v25
	v_mul_lo_u32 v15, v37, v36
	v_sub_u32_e32 v30, v30, v38
	v_mad_u64_u32 v[24:25], s[4:5], v25, v97, v[26:27]
	v_sub_u32_e32 v15, v96, v15
	v_readfirstlane_b32 s24, v24
	v_mad_u64_u32 v[24:25], s[4:5], v15, v84, v[30:31]
	v_readfirstlane_b32 s25, v24
	v_lshl_or_b32 v30, s25, 7, v80
	v_mul_hi_u32 v15, v71, v30
	v_add_u32_e32 v15, v30, v15
	v_mul_hi_u32 v14, v39, v0
	v_lshrrev_b32_e32 v15, v69, v15
	v_add_u32_e32 v14, v39, v14
	v_mul_hi_u32 v24, v15, v70
	v_mul_lo_u32 v51, v39, v55
	v_lshrrev_b32_e32 v14, v4, v14
	v_mul_lo_u32 v25, v15, v29
	v_add_u32_e32 v24, v15, v24
	v_sub_u32_e32 v13, v27, v51
	v_mul_lo_u32 v51, v14, v54
	v_sub_u32_e32 v25, v30, v25
	v_lshrrev_b32_e32 v26, v68, v24
	v_sub_u32_e32 v49, v39, v51
	v_mul_lo_u32 v24, v25, v67
	v_mul_lo_u32 v25, v26, v28
	;; [unrolled: 1-line block ×3, first 2 shown]
	v_mad_u64_u32 v[36:37], s[4:5], v49, v66, v[24:25]
	v_sub_u32_e32 v15, v15, v25
	v_sub_u32_e32 v24, v36, v64
	v_mad_u64_u32 v[38:39], s[4:5], v15, v53, v[38:39]
	v_mul_lo_u32 v24, v24, v34
	v_sub_u32_e32 v15, v38, v17
	v_sub_u32_e32 v16, v16, v18
	v_mul_lo_u32 v26, v26, v32
	v_mad_u64_u32 v[24:25], s[4:5], v35, v13, v[24:25]
	v_mul_lo_u32 v15, v15, v33
	v_cmp_ge_i32_e64 s[6:7], v38, v17
	v_cmp_gt_i32_e64 s[8:9], v16, v38
	v_sub_u32_e32 v18, v19, v65
	v_add3_u32 v37, v24, v26, v15
	v_lshlrev_b32_e32 v24, 1, v31
	s_and_b64 s[10:11], s[6:7], s[8:9]
	v_cmp_ge_i32_e64 s[6:7], v36, v64
	v_cmp_gt_i32_e64 s[8:9], v18, v36
	v_lshrrev_b32_e32 v15, 5, v31
	v_and_b32_e32 v26, 0x1f8, v24
	v_and_b32_e32 v24, 0x1fc, v24
	v_cmp_lt_i32_e64 s[4:5], v27, v83
	s_and_b64 s[6:7], s[6:7], s[8:9]
	v_lshlrev_b32_e32 v25, 6, v15
	v_sub_u32_e32 v24, v24, v26
	s_and_b64 s[4:5], s[4:5], s[6:7]
	v_sub_u32_e32 v25, v26, v25
	v_lshlrev_b32_e32 v28, 2, v31
	v_lshl_add_u32 v51, v15, 3, v24
	v_cmp_lt_i32_e32 vcc, v30, v86
	s_and_b64 s[4:5], s[4:5], s[10:11]
	v_lshl_or_b32 v15, s24, 7, v80
	v_mul_lo_u32 v32, v81, v93
	v_and_or_b32 v50, v28, 4, v25
	v_accvgpr_write_b32 a11, v30
	v_lshlrev_b32_e32 v24, 2, v85
	v_mov_b32_e32 v25, 0x20000
	s_and_b64 s[4:5], vcc, s[4:5]
	s_mov_b64 s[10:11], exec
	v_accvgpr_write_b32 a10, v15
	v_mad_u64_u32 v[30:31], s[6:7], v87, v15, v[32:33]
	v_or_b32_e32 v15, 4, v93
	v_lshlrev_b32_e32 v19, 2, v37
.LBB7_1:                                ; =>This Inner Loop Header: Depth=1
	v_readfirstlane_b32 s12, v22
	v_readfirstlane_b32 s13, v23
	;; [unrolled: 1-line block ×4, first 2 shown]
	v_cmp_eq_u64_e64 s[6:7], s[12:13], v[22:23]
	v_cmp_eq_u64_e64 s[8:9], s[14:15], v[24:25]
	s_and_b64 s[6:7], s[6:7], s[8:9]
	s_and_saveexec_b64 s[6:7], s[6:7]
	s_nop 0
	buffer_load_dwordx4 v[26:29], v19, s[12:15], 0 offen
                                        ; implicit-def: $vgpr19
	s_xor_b64 exec, exec, s[6:7]
	s_cbranch_execnz .LBB7_1
; %bb.2:
	s_mov_b64 exec, s[10:11]
	v_mul_lo_u32 v15, v12, v15
	v_mul_hi_u32 v1, v1, v15
	v_add_u32_e32 v1, v15, v1
	v_lshrrev_b32_e32 v1, v5, v1
	v_mul_hi_u32 v0, v1, v0
	v_add_u32_e32 v0, v1, v0
	v_lshrrev_b32_e32 v12, v4, v0
	v_mul_lo_u32 v0, v12, v54
	v_mul_lo_u32 v4, v1, v55
	v_sub_u32_e32 v0, v1, v0
	v_sub_u32_e32 v1, v15, v4
	;; [unrolled: 1-line block ×4, first 2 shown]
	v_mul_lo_u32 v19, v4, v66
	v_mul_lo_u32 v4, v52, v14
	v_sub_u32_e32 v5, v1, v13
	v_add_u32_e32 v13, v19, v36
	v_add_u32_e32 v14, v38, v4
	v_mul_lo_u32 v4, v4, v33
	s_waitcnt vmcnt(0)
	v_cndmask_b32_e64 v29, 0, v29, s[4:5]
	v_cndmask_b32_e64 v28, 0, v28, s[4:5]
	v_cndmask_b32_e64 v27, 0, v27, s[4:5]
	v_cndmask_b32_e64 v26, 0, v26, s[4:5]
	v_mul_lo_u32 v31, v35, v5
	v_mad_u64_u32 v[4:5], s[4:5], v19, v34, v[4:5]
	v_cmp_le_i32_e64 s[6:7], v64, v13
	v_cmp_gt_i32_e64 s[8:9], v18, v13
	v_cmp_lt_i32_e64 s[4:5], v15, v83
	s_and_b64 s[6:7], s[6:7], s[8:9]
	s_and_b64 s[8:9], s[4:5], s[6:7]
	v_cmp_le_i32_e64 s[4:5], v17, v14
	v_cmp_gt_i32_e64 s[6:7], v16, v14
	s_and_b64 s[4:5], s[4:5], s[6:7]
	v_add3_u32 v92, v4, v31, v37
	s_and_b64 s[4:5], s[8:9], s[4:5]
	v_lshlrev_b32_e32 v4, 2, v92
	s_and_b64 vcc, vcc, s[4:5]
	s_mov_b64 s[12:13], exec
.LBB7_3:                                ; =>This Inner Loop Header: Depth=1
	v_readfirstlane_b32 s8, v22
	v_readfirstlane_b32 s9, v23
	v_readfirstlane_b32 s10, v24
	v_readfirstlane_b32 s11, v25
	v_cmp_eq_u64_e64 s[4:5], s[8:9], v[22:23]
	v_cmp_eq_u64_e64 s[6:7], s[10:11], v[24:25]
	s_and_b64 s[4:5], s[4:5], s[6:7]
	s_and_saveexec_b64 s[4:5], s[4:5]
	s_nop 0
	buffer_load_dwordx4 v[16:19], v4, s[8:11], 0 offen
                                        ; implicit-def: $vgpr4
	s_xor_b64 exec, exec, s[4:5]
	s_cbranch_execnz .LBB7_3
; %bb.4:
	s_mov_b64 exec, s[12:13]
	flat_load_dword v38, v[10:11] offset:32
	flat_load_dword v37, v[10:11] offset:20
	s_waitcnt vmcnt(0)
	v_cndmask_b32_e32 v35, 0, v16, vcc
	v_accvgpr_read_b32 v16, a10
	v_cndmask_b32_e32 v31, 0, v19, vcc
	v_cndmask_b32_e32 v33, 0, v18, vcc
	;; [unrolled: 1-line block ×3, first 2 shown]
	v_lshlrev_b32_e32 v4, 2, v82
	v_mov_b32_e32 v5, 0x20000
	v_lshlrev_b32_e32 v36, 2, v30
	s_mov_b64 s[10:11], exec
	s_waitcnt lgkmcnt(0)
	v_cmp_gt_i32_e64 s[4:5], v38, v32
	v_cmp_gt_i32_e32 vcc, v37, v16
	s_and_b64 s[4:5], vcc, s[4:5]
.LBB7_5:                                ; =>This Inner Loop Header: Depth=1
	v_readfirstlane_b32 s12, v2
	v_readfirstlane_b32 s13, v3
	;; [unrolled: 1-line block ×4, first 2 shown]
	v_cmp_eq_u64_e64 s[6:7], s[12:13], v[2:3]
	v_cmp_eq_u64_e64 s[8:9], s[14:15], v[4:5]
	s_and_b64 s[6:7], s[6:7], s[8:9]
	s_and_saveexec_b64 s[6:7], s[6:7]
	s_nop 0
	buffer_load_dwordx4 v[16:19], v36, s[12:15], 0 offen
                                        ; implicit-def: $vgpr36
	s_xor_b64 exec, exec, s[6:7]
	s_cbranch_execnz .LBB7_5
; %bb.6:
	s_mov_b64 exec, s[10:11]
	s_waitcnt vmcnt(0)
	v_cndmask_b32_e64 v49, 0, v16, s[4:5]
	v_lshlrev_b32_e32 v16, 2, v81
	v_add_u32_e32 v116, v16, v32
	v_cndmask_b32_e64 v36, 0, v19, s[4:5]
	v_cndmask_b32_e64 v37, 0, v18, s[4:5]
	;; [unrolled: 1-line block ×3, first 2 shown]
	v_add_u32_e32 v117, v30, v16
	v_cmp_gt_i32_e64 s[4:5], v38, v116
	v_lshlrev_b32_e32 v30, 2, v117
	s_and_b64 vcc, vcc, s[4:5]
	s_mov_b64 s[12:13], exec
.LBB7_7:                                ; =>This Inner Loop Header: Depth=1
	v_readfirstlane_b32 s8, v2
	v_readfirstlane_b32 s9, v3
	v_readfirstlane_b32 s10, v4
	v_readfirstlane_b32 s11, v5
	v_cmp_eq_u64_e64 s[4:5], s[8:9], v[2:3]
	v_cmp_eq_u64_e64 s[6:7], s[10:11], v[4:5]
	s_and_b64 s[4:5], s[4:5], s[6:7]
	s_and_saveexec_b64 s[4:5], s[4:5]
	s_nop 0
	buffer_load_dwordx4 v[16:19], v30, s[8:11], 0 offen
                                        ; implicit-def: $vgpr30
	s_xor_b64 exec, exec, s[4:5]
	s_cbranch_execnz .LBB7_7
; %bb.8:
	s_mov_b64 exec, s[12:13]
	flat_load_dword v30, v[8:9] offset:228
	v_lshlrev_b32_e32 v32, 2, v80
	s_waitcnt vmcnt(0)
	v_cndmask_b32_e32 v16, 0, v16, vcc
	v_lshl_or_b32 v32, v93, 9, v32
	v_cndmask_b32_e32 v19, 0, v19, vcc
	v_cndmask_b32_e32 v18, 0, v18, vcc
	;; [unrolled: 1-line block ×3, first 2 shown]
	ds_write2st64_b32 v32, v26, v27 offset1:2
	ds_write2st64_b32 v32, v28, v29 offset0:4 offset1:6
	ds_write2st64_b32 v32, v35, v34 offset0:8 offset1:10
	ds_write2st64_b32 v32, v33, v31 offset0:12 offset1:14
	ds_write2st64_b32 v32, v49, v48 offset0:64 offset1:66
	ds_write2st64_b32 v32, v37, v36 offset0:68 offset1:70
	ds_write2st64_b32 v32, v16, v17 offset0:72 offset1:74
	ds_write2st64_b32 v32, v18, v19 offset0:76 offset1:78
	s_mov_b64 s[20:21], 0
	v_mov_b32_e32 v60, 0
	v_mov_b32_e32 v61, 0
	;; [unrolled: 1-line block ×64, first 2 shown]
	v_accvgpr_write_b32 a6, v51
	v_lshlrev_b32_e32 v94, 2, v51
	v_accvgpr_write_b32 a3, v50
	v_lshlrev_b32_e32 v95, 2, v50
	v_accvgpr_write_b32 a7, v32
	v_mov_b32_e32 v93, v15
	s_waitcnt lgkmcnt(0)
	v_subrev_u32_e32 v16, 32, v30
	v_accvgpr_write_b32 a12, v16
	v_or_b32_e32 v16, 0x4000, v32
	v_accvgpr_write_b32 a13, v16
	v_or_b32_e32 v16, 0x2000, v32
	;; [unrolled: 2-line block ×3, first 2 shown]
	v_accvgpr_write_b32 a8, v16
.LBB7_9:                                ; =>This Loop Header: Depth=1
                                        ;     Child Loop BB7_10 Depth 2
                                        ;     Child Loop BB7_12 Depth 2
	;; [unrolled: 1-line block ×8, first 2 shown]
	flat_load_dword v28, v[8:9] offset:216
	flat_load_dword v104, v[10:11] offset:48
	;; [unrolled: 1-line block ×3, first 2 shown]
	flat_load_dwordx4 v[16:19], v[8:9] offset:36
	flat_load_dwordx2 v[34:35], v[8:9] offset:52
	flat_load_dword v106, v[10:11] offset:20
	flat_load_dwordx2 v[26:27], v[8:9] offset:160
	flat_load_dword v107, v[8:9] offset:200
	flat_load_dword v105, v[10:11] offset:32
	flat_load_dwordx2 v[36:37], v[8:9] offset:172
	flat_load_dwordx2 v[48:49], v[8:9] offset:148
	flat_load_dwordx3 v[30:32], v[8:9] offset:20
	flat_load_dword v50, v[8:9] offset:92
	flat_load_dword v51, v[8:9] offset:76
	v_accvgpr_read_b32 v33, a11
	s_mov_b64 s[22:23], exec
	s_waitcnt vmcnt(0) lgkmcnt(0)
	v_mul_lo_u32 v108, v28, 12
	v_mul_lo_u32 v109, v104, 12
	v_cmp_lt_i32_e32 vcc, v33, v29
	v_sub_u32_e32 v16, v16, v18
	v_lshlrev_b32_e32 v18, 2, v28
	v_add_u32_e32 v28, v108, v15
	v_sub_u32_e32 v33, v19, v35
	v_accvgpr_read_b32 v19, a10
	v_mul_hi_u32 v15, v28, v27
	v_cmp_gt_i32_e64 s[8:9], v106, v19
	v_add_u32_e32 v19, v108, v93
	v_add_u32_e32 v120, v18, v28
	;; [unrolled: 1-line block ×4, first 2 shown]
	v_mul_hi_u32 v18, v120, v27
	v_lshrrev_b32_e32 v15, v37, v15
	v_cmp_lt_i32_e64 s[6:7], v19, v107
	v_add_u32_e32 v18, v120, v18
	v_mul_lo_u32 v19, v15, v49
	v_lshrrev_b32_e32 v35, v37, v18
	v_sub_u32_e32 v28, v28, v19
	v_add_u32_e32 v93, v109, v116
	v_mul_hi_u32 v27, v15, v26
	v_mul_lo_u32 v18, v35, v49
	v_mul_hi_u32 v19, v35, v26
	v_sub_u32_e32 v26, v28, v1
	v_add_u32_e32 v117, v109, v117
	v_cmp_gt_i32_e64 s[10:11], v105, v93
	v_sub_u32_e32 v1, v120, v18
	v_add_u32_e32 v37, v35, v19
	v_mad_u64_u32 v[18:19], s[12:13], v32, v26, v[92:93]
	v_lshlrev_b32_e32 v106, 2, v117
	v_cmp_lt_i32_e64 s[4:5], v111, v107
	s_and_b64 s[10:11], s[8:9], s[10:11]
	v_add_u32_e32 v116, v15, v27
	v_sub_u32_e32 v19, v1, v28
.LBB7_10:                               ;   Parent Loop BB7_9 Depth=1
                                        ; =>  This Inner Loop Header: Depth=2
	v_readfirstlane_b32 s16, v2
	v_readfirstlane_b32 s17, v3
	;; [unrolled: 1-line block ×4, first 2 shown]
	v_cmp_eq_u64_e64 s[12:13], s[16:17], v[2:3]
	v_cmp_eq_u64_e64 s[14:15], s[18:19], v[4:5]
	s_and_b64 s[12:13], s[12:13], s[14:15]
	s_and_saveexec_b64 s[12:13], s[12:13]
	s_nop 0
	buffer_load_dwordx4 v[26:29], v106, s[16:19], 0 offen
                                        ; implicit-def: $vgpr106
	s_xor_b64 exec, exec, s[12:13]
	s_cbranch_execnz .LBB7_10
; %bb.11:                               ;   in Loop: Header=BB7_9 Depth=1
	s_mov_b64 exec, s[22:23]
	s_waitcnt vmcnt(0)
	v_cndmask_b32_e64 v125, 0, v26, s[10:11]
	v_lshlrev_b32_e32 v26, 2, v104
	v_add_u32_e32 v92, v26, v93
	v_cndmask_b32_e64 v122, 0, v29, s[10:11]
	v_cndmask_b32_e64 v123, 0, v28, s[10:11]
	;; [unrolled: 1-line block ×3, first 2 shown]
	v_add_u32_e32 v121, v26, v117
	v_cmp_gt_i32_e64 s[10:11], v105, v92
	v_lshlrev_b32_e32 v49, 2, v121
	s_and_b64 s[8:9], s[8:9], s[10:11]
	s_mov_b64 s[14:15], exec
.LBB7_12:                               ;   Parent Loop BB7_9 Depth=1
                                        ; =>  This Inner Loop Header: Depth=2
	v_readfirstlane_b32 s16, v2
	v_readfirstlane_b32 s17, v3
	;; [unrolled: 1-line block ×4, first 2 shown]
	v_cmp_eq_u64_e64 s[10:11], s[16:17], v[2:3]
	v_cmp_eq_u64_e64 s[12:13], s[18:19], v[4:5]
	s_and_b64 s[10:11], s[10:11], s[12:13]
	s_and_saveexec_b64 s[10:11], s[10:11]
	s_nop 0
	buffer_load_dwordx4 v[26:29], v49, s[16:19], 0 offen
                                        ; implicit-def: $vgpr49
	s_xor_b64 exec, exec, s[10:11]
	s_cbranch_execnz .LBB7_12
; %bb.13:                               ;   in Loop: Header=BB7_9 Depth=1
	s_mov_b64 exec, s[14:15]
	v_lshrrev_b32_e32 v49, v36, v116
	s_waitcnt vmcnt(0)
	v_cndmask_b32_e64 v93, 0, v26, s[8:9]
	v_mul_lo_u32 v26, v49, v48
	v_sub_u32_e32 v116, v15, v26
	v_sub_u32_e32 v0, v116, v0
	v_mul_lo_u32 v0, v0, v50
	v_sub_u32_e32 v15, v49, v12
	v_add_u32_e32 v12, v0, v13
	v_cndmask_b32_e64 v126, 0, v29, s[8:9]
	v_cndmask_b32_e64 v127, 0, v28, s[8:9]
	;; [unrolled: 1-line block ×3, first 2 shown]
	v_mul_lo_u32 v13, v15, v51
	v_cmp_le_i32_e64 s[8:9], v34, v12
	v_cmp_gt_i32_e64 s[10:11], v33, v12
	v_add_u32_e32 v104, v13, v14
	s_and_b64 s[8:9], s[8:9], s[10:11]
	s_and_b64 s[10:11], s[6:7], s[8:9]
	v_cmp_le_i32_e64 s[6:7], v17, v104
	v_cmp_gt_i32_e64 s[8:9], v16, v104
	v_mul_lo_u32 v13, v13, v30
	v_mul_lo_u32 v0, v0, v31
	s_and_b64 s[6:7], s[6:7], s[8:9]
	v_add3_u32 v0, v18, v13, v0
	s_and_b64 s[6:7], s[10:11], s[6:7]
	s_and_b64 s[6:7], vcc, s[6:7]
	v_lshlrev_b32_e32 v13, 2, v0
	s_mov_b64 s[16:17], exec
.LBB7_14:                               ;   Parent Loop BB7_9 Depth=1
                                        ; =>  This Inner Loop Header: Depth=2
	v_readfirstlane_b32 s12, v22
	v_readfirstlane_b32 s13, v23
	;; [unrolled: 1-line block ×4, first 2 shown]
	v_cmp_eq_u64_e64 s[8:9], s[12:13], v[22:23]
	v_cmp_eq_u64_e64 s[10:11], s[14:15], v[24:25]
	s_and_b64 s[8:9], s[8:9], s[10:11]
	s_and_saveexec_b64 s[8:9], s[8:9]
	s_nop 0
	buffer_load_dwordx4 v[26:29], v13, s[12:15], 0 offen
                                        ; implicit-def: $vgpr13
	s_xor_b64 exec, exec, s[8:9]
	s_cbranch_execnz .LBB7_14
; %bb.15:                               ;   in Loop: Header=BB7_9 Depth=1
	s_mov_b64 exec, s[16:17]
	v_lshrrev_b32_e32 v109, v36, v37
	s_waitcnt vmcnt(0)
	v_cndmask_b32_e64 v15, 0, v29, s[6:7]
	v_cndmask_b32_e64 v14, 0, v28, s[6:7]
	v_cndmask_b32_e64 v108, 0, v27, s[6:7]
	v_cndmask_b32_e64 v107, 0, v26, s[6:7]
	v_mad_u64_u32 v[18:19], s[6:7], v32, v19, v[0:1]
	v_mul_lo_u32 v0, v109, v48
	v_sub_u32_e32 v13, v35, v0
	v_sub_u32_e32 v0, v13, v116
	v_mul_lo_u32 v0, v0, v50
	v_sub_u32_e32 v19, v109, v49
	v_add_u32_e32 v116, v0, v12
	v_mul_lo_u32 v19, v19, v51
	v_cmp_le_i32_e64 s[6:7], v34, v116
	v_cmp_gt_i32_e64 s[8:9], v33, v116
	v_add_u32_e32 v12, v19, v104
	s_and_b64 s[6:7], s[6:7], s[8:9]
	s_and_b64 s[8:9], s[4:5], s[6:7]
	v_cmp_le_i32_e64 s[4:5], v17, v12
	v_cmp_gt_i32_e64 s[6:7], v16, v12
	v_mul_lo_u32 v19, v19, v30
	v_mul_lo_u32 v0, v0, v31
	s_and_b64 s[4:5], s[4:5], s[6:7]
	v_add3_u32 v0, v18, v19, v0
	s_and_b64 s[4:5], s[4:5], s[8:9]
	v_lshlrev_b32_e32 v26, 2, v0
	s_and_b64 vcc, vcc, s[4:5]
	s_mov_b64 s[12:13], exec
.LBB7_16:                               ;   Parent Loop BB7_9 Depth=1
                                        ; =>  This Inner Loop Header: Depth=2
	v_readfirstlane_b32 s8, v22
	v_readfirstlane_b32 s9, v23
	;; [unrolled: 1-line block ×4, first 2 shown]
	v_cmp_eq_u64_e64 s[4:5], s[8:9], v[22:23]
	v_cmp_eq_u64_e64 s[6:7], s[10:11], v[24:25]
	s_and_b64 s[4:5], s[4:5], s[6:7]
	s_and_saveexec_b64 s[4:5], s[4:5]
	s_nop 0
	buffer_load_dwordx4 v[16:19], v26, s[8:11], 0 offen
                                        ; implicit-def: $vgpr26
	s_xor_b64 exec, exec, s[4:5]
	s_cbranch_execnz .LBB7_16
; %bb.17:                               ;   in Loop: Header=BB7_9 Depth=1
	s_mov_b64 exec, s[12:13]
	s_waitcnt lgkmcnt(0)
	s_barrier
	ds_read_b128 v[30:33], v94
	ds_read_b128 v[34:37], v95 offset:16384
	ds_read_b128 v[26:29], v95 offset:16640
	;; [unrolled: 1-line block ×3, first 2 shown]
	s_waitcnt vmcnt(0)
	v_cndmask_b32_e32 v16, 0, v16, vcc
	s_waitcnt lgkmcnt(2)
	;;#ASMSTART
	
             v_fmac_f32 v90, v30, v34 
             
	;;#ASMEND
	;;#ASMSTART
	
             v_fmac_f32 v91, v30, v35 
             
	;;#ASMEND
	;; [unrolled: 5-line block ×16, first 2 shown]
	s_waitcnt lgkmcnt(1)
	;;#ASMSTART
	
             v_fmac_f32 v88, v30, v26 
             
	;;#ASMEND
	;;#ASMSTART
	
             v_fmac_f32 v89, v30, v27 
             
	;;#ASMEND
	;; [unrolled: 5-line block ×16, first 2 shown]
	ds_read_b128 v[30:33], v94 offset:512
	s_waitcnt lgkmcnt(1)
	;;#ASMSTART
	
             v_fmac_f32 v60, v48, v34 
             
	;;#ASMEND
	;;#ASMSTART
	
             v_fmac_f32 v61, v48, v35 
             
	;;#ASMEND
	;; [unrolled: 5-line block ×16, first 2 shown]
	ds_read_b128 v[34:37], v95 offset:16896
	;;#ASMSTART
	
             v_fmac_f32 v56, v48, v26 
             
	;;#ASMEND
	;;#ASMSTART
	
             v_fmac_f32 v57, v48, v27 
             
	;;#ASMEND
	;; [unrolled: 5-line block ×16, first 2 shown]
	ds_read_b128 v[26:29], v95 offset:17152
	ds_read_b128 v[48:51], v94 offset:768
	s_waitcnt lgkmcnt(2)
	;;#ASMSTART
	
             v_fmac_f32 v90, v30, v34 
             
	;;#ASMEND
	;;#ASMSTART
	
             v_fmac_f32 v91, v30, v35 
             
	;;#ASMEND
	;; [unrolled: 5-line block ×16, first 2 shown]
	s_waitcnt lgkmcnt(1)
	;;#ASMSTART
	
             v_fmac_f32 v88, v30, v26 
             
	;;#ASMEND
	;;#ASMSTART
	
             v_fmac_f32 v89, v30, v27 
             
	;;#ASMEND
	;; [unrolled: 5-line block ×16, first 2 shown]
	ds_read_b128 v[30:33], v94 offset:1024
	s_waitcnt lgkmcnt(1)
	;;#ASMSTART
	
             v_fmac_f32 v60, v48, v34 
             
	;;#ASMEND
	;;#ASMSTART
	
             v_fmac_f32 v61, v48, v35 
             
	;;#ASMEND
	;; [unrolled: 5-line block ×16, first 2 shown]
	ds_read_b128 v[34:37], v95 offset:17408
	;;#ASMSTART
	
             v_fmac_f32 v56, v48, v26 
             
	;;#ASMEND
	;;#ASMSTART
	
             v_fmac_f32 v57, v48, v27 
             
	;;#ASMEND
	;; [unrolled: 5-line block ×16, first 2 shown]
	ds_read_b128 v[26:29], v95 offset:17664
	ds_read_b128 v[48:51], v94 offset:1280
	s_waitcnt lgkmcnt(2)
	;;#ASMSTART
	
             v_fmac_f32 v90, v30, v34 
             
	;;#ASMEND
	;;#ASMSTART
	
             v_fmac_f32 v91, v30, v35 
             
	;;#ASMEND
	;; [unrolled: 5-line block ×16, first 2 shown]
	s_waitcnt lgkmcnt(1)
	;;#ASMSTART
	
             v_fmac_f32 v88, v30, v26 
             
	;;#ASMEND
	;;#ASMSTART
	
             v_fmac_f32 v89, v30, v27 
             
	;;#ASMEND
	;; [unrolled: 5-line block ×16, first 2 shown]
	ds_read_b128 v[30:33], v94 offset:1536
	s_waitcnt lgkmcnt(1)
	;;#ASMSTART
	
             v_fmac_f32 v60, v48, v34 
             
	;;#ASMEND
	;;#ASMSTART
	
             v_fmac_f32 v61, v48, v35 
             
	;;#ASMEND
	;; [unrolled: 5-line block ×16, first 2 shown]
	ds_read_b128 v[34:37], v95 offset:17920
	;;#ASMSTART
	
             v_fmac_f32 v56, v48, v26 
             
	;;#ASMEND
	;;#ASMSTART
	
             v_fmac_f32 v57, v48, v27 
             
	;;#ASMEND
	;; [unrolled: 5-line block ×16, first 2 shown]
	ds_read_b128 v[26:29], v95 offset:18176
	ds_read_b128 v[48:51], v94 offset:1792
	s_waitcnt lgkmcnt(2)
	;;#ASMSTART
	
             v_fmac_f32 v90, v30, v34 
             
	;;#ASMEND
	;;#ASMSTART
	
             v_fmac_f32 v91, v30, v35 
             
	;;#ASMEND
	;; [unrolled: 5-line block ×16, first 2 shown]
	s_waitcnt lgkmcnt(1)
	;;#ASMSTART
	
             v_fmac_f32 v88, v30, v26 
             
	;;#ASMEND
	;;#ASMSTART
	
             v_fmac_f32 v89, v30, v27 
             
	;;#ASMEND
	;; [unrolled: 5-line block ×16, first 2 shown]
	ds_read_b128 v[30:33], v94 offset:2048
	s_waitcnt lgkmcnt(1)
	;;#ASMSTART
	
             v_fmac_f32 v60, v48, v34 
             
	;;#ASMEND
	;;#ASMSTART
	
             v_fmac_f32 v61, v48, v35 
             
	;;#ASMEND
	;; [unrolled: 5-line block ×16, first 2 shown]
	ds_read_b128 v[34:37], v95 offset:18432
	;;#ASMSTART
	
             v_fmac_f32 v56, v48, v26 
             
	;;#ASMEND
	;;#ASMSTART
	
             v_fmac_f32 v57, v48, v27 
             
	;;#ASMEND
	;;#ASMSTART
	
             v_fmac_f32 v46, v48, v28 
             
	;;#ASMEND
	;;#ASMSTART
	
             v_fmac_f32 v47, v48, v29 
             
	;;#ASMEND
	;;#ASMSTART
	
             v_fmac_f32 v86, v49, v26 
             
	;;#ASMEND
	;;#ASMSTART
	
             v_fmac_f32 v87, v49, v27 
             
	;;#ASMEND
	;;#ASMSTART
	
             v_fmac_f32 v84, v49, v28 
             
	;;#ASMEND
	;;#ASMSTART
	
             v_fmac_f32 v85, v49, v29 
             
	;;#ASMEND
	;;#ASMSTART
	
             v_fmac_f32 v102, v50, v26 
             
	;;#ASMEND
	;;#ASMSTART
	
             v_fmac_f32 v103, v50, v27 
             
	;;#ASMEND
	;;#ASMSTART
	
             v_fmac_f32 v100, v50, v28 
             
	;;#ASMEND
	;;#ASMSTART
	
             v_fmac_f32 v101, v50, v29 
             
	;;#ASMEND
	;;#ASMSTART
	
             v_fmac_f32 v118, v51, v26 
             
	;;#ASMEND
	;;#ASMSTART
	
             v_fmac_f32 v119, v51, v27 
             
	;;#ASMEND
	;;#ASMSTART
	
             v_fmac_f32 v40, v51, v28 
             
	;;#ASMEND
	;;#ASMSTART
	
             v_fmac_f32 v41, v51, v29 
             
	;;#ASMEND
	ds_read_b128 v[26:29], v95 offset:18688
	ds_read_b128 v[48:51], v94 offset:2304
	s_waitcnt lgkmcnt(2)
	;;#ASMSTART
	
             v_fmac_f32 v90, v30, v34 
             
	;;#ASMEND
	;;#ASMSTART
	
             v_fmac_f32 v91, v30, v35 
             
	;;#ASMEND
	;;#ASMSTART
	
             v_fmac_f32 v38, v30, v36 
             
	;;#ASMEND
	;;#ASMSTART
	
             v_fmac_f32 v39, v30, v37 
             
	;;#ASMEND
	;;#ASMSTART
	
             v_fmac_f32 v76, v31, v34 
             
	;;#ASMEND
	;;#ASMSTART
	
             v_fmac_f32 v77, v31, v35 
             
	;;#ASMEND
	;;#ASMSTART
	
             v_fmac_f32 v74, v31, v36 
             
	;;#ASMEND
	;;#ASMSTART
	
             v_fmac_f32 v75, v31, v37 
             
	;;#ASMEND
	;;#ASMSTART
	
             v_fmac_f32 v54, v32, v34 
             
	;;#ASMEND
	;;#ASMSTART
	
             v_fmac_f32 v55, v32, v35 
             
	;;#ASMEND
	;;#ASMSTART
	
             v_fmac_f32 v52, v32, v36 
             
	;;#ASMEND
	;;#ASMSTART
	
             v_fmac_f32 v53, v32, v37 
             
	;;#ASMEND
	;;#ASMSTART
	
             v_fmac_f32 v72, v33, v34 
             
	;;#ASMEND
	;;#ASMSTART
	
             v_fmac_f32 v73, v33, v35 
             
	;;#ASMEND
	;;#ASMSTART
	
             v_fmac_f32 v62, v33, v36 
             
	;;#ASMEND
	;;#ASMSTART
	
             v_fmac_f32 v63, v33, v37 
             
	;;#ASMEND
	s_waitcnt lgkmcnt(1)
	;;#ASMSTART
	
             v_fmac_f32 v88, v30, v26 
             
	;;#ASMEND
	;;#ASMSTART
	
             v_fmac_f32 v89, v30, v27 
             
	;;#ASMEND
	;; [unrolled: 5-line block ×16, first 2 shown]
	ds_read_b128 v[30:33], v94 offset:2560
	s_waitcnt lgkmcnt(1)
	;;#ASMSTART
	
             v_fmac_f32 v60, v48, v34 
             
	;;#ASMEND
	;;#ASMSTART
	
             v_fmac_f32 v61, v48, v35 
             
	;;#ASMEND
	;;#ASMSTART
	
             v_fmac_f32 v58, v48, v36 
             
	;;#ASMEND
	;;#ASMSTART
	
             v_fmac_f32 v59, v48, v37 
             
	;;#ASMEND
	;;#ASMSTART
	
             v_fmac_f32 v44, v49, v34 
             
	;;#ASMEND
	;;#ASMSTART
	
             v_fmac_f32 v45, v49, v35 
             
	;;#ASMEND
	;;#ASMSTART
	
             v_fmac_f32 v42, v49, v36 
             
	;;#ASMEND
	;;#ASMSTART
	
             v_fmac_f32 v43, v49, v37 
             
	;;#ASMEND
	;;#ASMSTART
	
             v_fmac_f32 v98, v50, v34 
             
	;;#ASMEND
	;;#ASMSTART
	
             v_fmac_f32 v99, v50, v35 
             
	;;#ASMEND
	;;#ASMSTART
	
             v_fmac_f32 v96, v50, v36 
             
	;;#ASMEND
	;;#ASMSTART
	
             v_fmac_f32 v97, v50, v37 
             
	;;#ASMEND
	;;#ASMSTART
	
             v_fmac_f32 v114, v51, v34 
             
	;;#ASMEND
	;;#ASMSTART
	
             v_fmac_f32 v115, v51, v35 
             
	;;#ASMEND
	;;#ASMSTART
	
             v_fmac_f32 v112, v51, v36 
             
	;;#ASMEND
	;;#ASMSTART
	
             v_fmac_f32 v113, v51, v37 
             
	;;#ASMEND
	ds_read_b128 v[34:37], v95 offset:18944
	;;#ASMSTART
	
             v_fmac_f32 v56, v48, v26 
             
	;;#ASMEND
	;;#ASMSTART
	
             v_fmac_f32 v57, v48, v27 
             
	;;#ASMEND
	;;#ASMSTART
	
             v_fmac_f32 v46, v48, v28 
             
	;;#ASMEND
	;;#ASMSTART
	
             v_fmac_f32 v47, v48, v29 
             
	;;#ASMEND
	;;#ASMSTART
	
             v_fmac_f32 v86, v49, v26 
             
	;;#ASMEND
	;;#ASMSTART
	
             v_fmac_f32 v87, v49, v27 
             
	;;#ASMEND
	;;#ASMSTART
	
             v_fmac_f32 v84, v49, v28 
             
	;;#ASMEND
	;;#ASMSTART
	
             v_fmac_f32 v85, v49, v29 
             
	;;#ASMEND
	;;#ASMSTART
	
             v_fmac_f32 v102, v50, v26 
             
	;;#ASMEND
	;;#ASMSTART
	
             v_fmac_f32 v103, v50, v27 
             
	;;#ASMEND
	;;#ASMSTART
	
             v_fmac_f32 v100, v50, v28 
             
	;;#ASMEND
	;;#ASMSTART
	
             v_fmac_f32 v101, v50, v29 
             
	;;#ASMEND
	;;#ASMSTART
	
             v_fmac_f32 v118, v51, v26 
             
	;;#ASMEND
	;;#ASMSTART
	
             v_fmac_f32 v119, v51, v27 
             
	;;#ASMEND
	;;#ASMSTART
	
             v_fmac_f32 v40, v51, v28 
             
	;;#ASMEND
	;;#ASMSTART
	
             v_fmac_f32 v41, v51, v29 
             
	;;#ASMEND
	ds_read_b128 v[26:29], v95 offset:19200
	ds_read_b128 v[48:51], v94 offset:2816
	s_waitcnt lgkmcnt(2)
	;;#ASMSTART
	
             v_fmac_f32 v90, v30, v34 
             
	;;#ASMEND
	;;#ASMSTART
	
             v_fmac_f32 v91, v30, v35 
             
	;;#ASMEND
	;; [unrolled: 5-line block ×16, first 2 shown]
	s_waitcnt lgkmcnt(1)
	;;#ASMSTART
	
             v_fmac_f32 v88, v30, v26 
             
	;;#ASMEND
	;;#ASMSTART
	
             v_fmac_f32 v89, v30, v27 
             
	;;#ASMEND
	;; [unrolled: 5-line block ×16, first 2 shown]
	ds_read_b128 v[30:33], v94 offset:3072
	s_waitcnt lgkmcnt(1)
	;;#ASMSTART
	
             v_fmac_f32 v60, v48, v34 
             
	;;#ASMEND
	;;#ASMSTART
	
             v_fmac_f32 v61, v48, v35 
             
	;;#ASMEND
	;; [unrolled: 5-line block ×16, first 2 shown]
	ds_read_b128 v[34:37], v95 offset:19456
	;;#ASMSTART
	
             v_fmac_f32 v56, v48, v26 
             
	;;#ASMEND
	;;#ASMSTART
	
             v_fmac_f32 v57, v48, v27 
             
	;;#ASMEND
	;; [unrolled: 5-line block ×16, first 2 shown]
	ds_read_b128 v[26:29], v95 offset:19712
	ds_read_b128 v[48:51], v94 offset:3328
	s_waitcnt lgkmcnt(2)
	;;#ASMSTART
	
             v_fmac_f32 v90, v30, v34 
             
	;;#ASMEND
	;;#ASMSTART
	
             v_fmac_f32 v91, v30, v35 
             
	;;#ASMEND
	;; [unrolled: 5-line block ×16, first 2 shown]
	s_waitcnt lgkmcnt(1)
	;;#ASMSTART
	
             v_fmac_f32 v88, v30, v26 
             
	;;#ASMEND
	;;#ASMSTART
	
             v_fmac_f32 v89, v30, v27 
             
	;;#ASMEND
	;; [unrolled: 5-line block ×16, first 2 shown]
	ds_read_b128 v[30:33], v94 offset:3584
	s_waitcnt lgkmcnt(1)
	;;#ASMSTART
	
             v_fmac_f32 v60, v48, v34 
             
	;;#ASMEND
	;;#ASMSTART
	
             v_fmac_f32 v61, v48, v35 
             
	;;#ASMEND
	;; [unrolled: 5-line block ×16, first 2 shown]
	ds_read_b128 v[34:37], v95 offset:19968
	;;#ASMSTART
	
             v_fmac_f32 v56, v48, v26 
             
	;;#ASMEND
	;;#ASMSTART
	
             v_fmac_f32 v57, v48, v27 
             
	;;#ASMEND
	;; [unrolled: 5-line block ×16, first 2 shown]
	ds_read_b128 v[26:29], v95 offset:20224
	ds_read_b128 v[48:51], v94 offset:3840
	s_waitcnt lgkmcnt(2)
	;;#ASMSTART
	
             v_fmac_f32 v90, v30, v34 
             
	;;#ASMEND
	;;#ASMSTART
	
             v_fmac_f32 v91, v30, v35 
             
	;;#ASMEND
	;; [unrolled: 5-line block ×16, first 2 shown]
	s_waitcnt lgkmcnt(1)
	;;#ASMSTART
	
             v_fmac_f32 v88, v30, v26 
             
	;;#ASMEND
	;;#ASMSTART
	
             v_fmac_f32 v89, v30, v27 
             
	;;#ASMEND
	;; [unrolled: 5-line block ×16, first 2 shown]
	ds_read_b128 v[30:33], v94 offset:4096
	s_waitcnt lgkmcnt(1)
	;;#ASMSTART
	
             v_fmac_f32 v60, v48, v34 
             
	;;#ASMEND
	;;#ASMSTART
	
             v_fmac_f32 v61, v48, v35 
             
	;;#ASMEND
	;;#ASMSTART
	
             v_fmac_f32 v58, v48, v36 
             
	;;#ASMEND
	;;#ASMSTART
	
             v_fmac_f32 v59, v48, v37 
             
	;;#ASMEND
	;;#ASMSTART
	
             v_fmac_f32 v44, v49, v34 
             
	;;#ASMEND
	;;#ASMSTART
	
             v_fmac_f32 v45, v49, v35 
             
	;;#ASMEND
	;;#ASMSTART
	
             v_fmac_f32 v42, v49, v36 
             
	;;#ASMEND
	;;#ASMSTART
	
             v_fmac_f32 v43, v49, v37 
             
	;;#ASMEND
	;;#ASMSTART
	
             v_fmac_f32 v98, v50, v34 
             
	;;#ASMEND
	;;#ASMSTART
	
             v_fmac_f32 v99, v50, v35 
             
	;;#ASMEND
	;;#ASMSTART
	
             v_fmac_f32 v96, v50, v36 
             
	;;#ASMEND
	;;#ASMSTART
	
             v_fmac_f32 v97, v50, v37 
             
	;;#ASMEND
	;;#ASMSTART
	
             v_fmac_f32 v114, v51, v34 
             
	;;#ASMEND
	;;#ASMSTART
	
             v_fmac_f32 v115, v51, v35 
             
	;;#ASMEND
	;;#ASMSTART
	
             v_fmac_f32 v112, v51, v36 
             
	;;#ASMEND
	;;#ASMSTART
	
             v_fmac_f32 v113, v51, v37 
             
	;;#ASMEND
	ds_read_b128 v[34:37], v95 offset:20480
	;;#ASMSTART
	
             v_fmac_f32 v56, v48, v26 
             
	;;#ASMEND
	;;#ASMSTART
	
             v_fmac_f32 v57, v48, v27 
             
	;;#ASMEND
	;; [unrolled: 5-line block ×16, first 2 shown]
	ds_read_b128 v[26:29], v95 offset:20736
	ds_read_b128 v[48:51], v94 offset:4352
	s_waitcnt lgkmcnt(2)
	;;#ASMSTART
	
             v_fmac_f32 v90, v30, v34 
             
	;;#ASMEND
	;;#ASMSTART
	
             v_fmac_f32 v91, v30, v35 
             
	;;#ASMEND
	;; [unrolled: 5-line block ×16, first 2 shown]
	s_waitcnt lgkmcnt(1)
	;;#ASMSTART
	
             v_fmac_f32 v88, v30, v26 
             
	;;#ASMEND
	;;#ASMSTART
	
             v_fmac_f32 v89, v30, v27 
             
	;;#ASMEND
	;;#ASMSTART
	
             v_fmac_f32 v78, v30, v28 
             
	;;#ASMEND
	;;#ASMSTART
	
             v_fmac_f32 v79, v30, v29 
             
	;;#ASMEND
	;;#ASMSTART
	
             v_fmac_f32 v70, v31, v26 
             
	;;#ASMEND
	;;#ASMSTART
	
             v_fmac_f32 v71, v31, v27 
             
	;;#ASMEND
	;;#ASMSTART
	
             v_fmac_f32 v68, v31, v28 
             
	;;#ASMEND
	;;#ASMSTART
	
             v_fmac_f32 v69, v31, v29 
             
	;;#ASMEND
	;;#ASMSTART
	
             v_fmac_f32 v66, v32, v26 
             
	;;#ASMEND
	;;#ASMSTART
	
             v_fmac_f32 v67, v32, v27 
             
	;;#ASMEND
	;;#ASMSTART
	
             v_fmac_f32 v64, v32, v28 
             
	;;#ASMEND
	;;#ASMSTART
	
             v_fmac_f32 v65, v32, v29 
             
	;;#ASMEND
	;;#ASMSTART
	
             v_fmac_f32 v82, v33, v26 
             
	;;#ASMEND
	;;#ASMSTART
	
             v_fmac_f32 v83, v33, v27 
             
	;;#ASMEND
	;;#ASMSTART
	
             v_fmac_f32 v80, v33, v28 
             
	;;#ASMEND
	;;#ASMSTART
	
             v_fmac_f32 v81, v33, v29 
             
	;;#ASMEND
	ds_read_b128 v[30:33], v94 offset:4608
	s_waitcnt lgkmcnt(1)
	;;#ASMSTART
	
             v_fmac_f32 v60, v48, v34 
             
	;;#ASMEND
	;;#ASMSTART
	
             v_fmac_f32 v61, v48, v35 
             
	;;#ASMEND
	;; [unrolled: 5-line block ×16, first 2 shown]
	ds_read_b128 v[34:37], v95 offset:20992
	;;#ASMSTART
	
             v_fmac_f32 v56, v48, v26 
             
	;;#ASMEND
	;;#ASMSTART
	
             v_fmac_f32 v57, v48, v27 
             
	;;#ASMEND
	;; [unrolled: 5-line block ×16, first 2 shown]
	ds_read_b128 v[26:29], v95 offset:21248
	ds_read_b128 v[48:51], v94 offset:4864
	s_waitcnt lgkmcnt(2)
	;;#ASMSTART
	
             v_fmac_f32 v90, v30, v34 
             
	;;#ASMEND
	;;#ASMSTART
	
             v_fmac_f32 v91, v30, v35 
             
	;;#ASMEND
	;; [unrolled: 5-line block ×16, first 2 shown]
	s_waitcnt lgkmcnt(1)
	;;#ASMSTART
	
             v_fmac_f32 v88, v30, v26 
             
	;;#ASMEND
	;;#ASMSTART
	
             v_fmac_f32 v89, v30, v27 
             
	;;#ASMEND
	;; [unrolled: 5-line block ×16, first 2 shown]
	ds_read_b128 v[30:33], v94 offset:5120
	s_waitcnt lgkmcnt(1)
	;;#ASMSTART
	
             v_fmac_f32 v60, v48, v34 
             
	;;#ASMEND
	;;#ASMSTART
	
             v_fmac_f32 v61, v48, v35 
             
	;;#ASMEND
	;; [unrolled: 5-line block ×16, first 2 shown]
	ds_read_b128 v[34:37], v95 offset:21504
	;;#ASMSTART
	
             v_fmac_f32 v56, v48, v26 
             
	;;#ASMEND
	;;#ASMSTART
	
             v_fmac_f32 v57, v48, v27 
             
	;;#ASMEND
	;; [unrolled: 5-line block ×16, first 2 shown]
	ds_read_b128 v[26:29], v95 offset:21760
	ds_read_b128 v[48:51], v94 offset:5376
	s_waitcnt lgkmcnt(2)
	;;#ASMSTART
	
             v_fmac_f32 v90, v30, v34 
             
	;;#ASMEND
	;;#ASMSTART
	
             v_fmac_f32 v91, v30, v35 
             
	;;#ASMEND
	;; [unrolled: 5-line block ×16, first 2 shown]
	s_waitcnt lgkmcnt(1)
	;;#ASMSTART
	
             v_fmac_f32 v88, v30, v26 
             
	;;#ASMEND
	;;#ASMSTART
	
             v_fmac_f32 v89, v30, v27 
             
	;;#ASMEND
	;;#ASMSTART
	
             v_fmac_f32 v78, v30, v28 
             
	;;#ASMEND
	;;#ASMSTART
	
             v_fmac_f32 v79, v30, v29 
             
	;;#ASMEND
	;;#ASMSTART
	
             v_fmac_f32 v70, v31, v26 
             
	;;#ASMEND
	;;#ASMSTART
	
             v_fmac_f32 v71, v31, v27 
             
	;;#ASMEND
	;;#ASMSTART
	
             v_fmac_f32 v68, v31, v28 
             
	;;#ASMEND
	;;#ASMSTART
	
             v_fmac_f32 v69, v31, v29 
             
	;;#ASMEND
	;;#ASMSTART
	
             v_fmac_f32 v66, v32, v26 
             
	;;#ASMEND
	;;#ASMSTART
	
             v_fmac_f32 v67, v32, v27 
             
	;;#ASMEND
	;;#ASMSTART
	
             v_fmac_f32 v64, v32, v28 
             
	;;#ASMEND
	;;#ASMSTART
	
             v_fmac_f32 v65, v32, v29 
             
	;;#ASMEND
	;;#ASMSTART
	
             v_fmac_f32 v82, v33, v26 
             
	;;#ASMEND
	;;#ASMSTART
	
             v_fmac_f32 v83, v33, v27 
             
	;;#ASMEND
	;;#ASMSTART
	
             v_fmac_f32 v80, v33, v28 
             
	;;#ASMEND
	;;#ASMSTART
	
             v_fmac_f32 v81, v33, v29 
             
	;;#ASMEND
	ds_read_b128 v[30:33], v94 offset:5632
	s_waitcnt lgkmcnt(1)
	;;#ASMSTART
	
             v_fmac_f32 v60, v48, v34 
             
	;;#ASMEND
	;;#ASMSTART
	
             v_fmac_f32 v61, v48, v35 
             
	;;#ASMEND
	;; [unrolled: 5-line block ×16, first 2 shown]
	ds_read_b128 v[34:37], v95 offset:22016
	;;#ASMSTART
	
             v_fmac_f32 v56, v48, v26 
             
	;;#ASMEND
	;;#ASMSTART
	
             v_fmac_f32 v57, v48, v27 
             
	;;#ASMEND
	;; [unrolled: 5-line block ×16, first 2 shown]
	ds_read_b128 v[26:29], v95 offset:22272
	ds_read_b128 v[48:51], v94 offset:5888
	s_waitcnt lgkmcnt(2)
	;;#ASMSTART
	
             v_fmac_f32 v90, v30, v34 
             
	;;#ASMEND
	;;#ASMSTART
	
             v_fmac_f32 v91, v30, v35 
             
	;;#ASMEND
	;; [unrolled: 5-line block ×16, first 2 shown]
	s_waitcnt lgkmcnt(1)
	;;#ASMSTART
	
             v_fmac_f32 v88, v30, v26 
             
	;;#ASMEND
	;;#ASMSTART
	
             v_fmac_f32 v89, v30, v27 
             
	;;#ASMEND
	;; [unrolled: 5-line block ×16, first 2 shown]
	ds_read_b128 v[30:33], v94 offset:6144
	s_waitcnt lgkmcnt(1)
	;;#ASMSTART
	
             v_fmac_f32 v60, v48, v34 
             
	;;#ASMEND
	;;#ASMSTART
	
             v_fmac_f32 v61, v48, v35 
             
	;;#ASMEND
	;;#ASMSTART
	
             v_fmac_f32 v58, v48, v36 
             
	;;#ASMEND
	;;#ASMSTART
	
             v_fmac_f32 v59, v48, v37 
             
	;;#ASMEND
	;;#ASMSTART
	
             v_fmac_f32 v44, v49, v34 
             
	;;#ASMEND
	;;#ASMSTART
	
             v_fmac_f32 v45, v49, v35 
             
	;;#ASMEND
	;;#ASMSTART
	
             v_fmac_f32 v42, v49, v36 
             
	;;#ASMEND
	;;#ASMSTART
	
             v_fmac_f32 v43, v49, v37 
             
	;;#ASMEND
	;;#ASMSTART
	
             v_fmac_f32 v98, v50, v34 
             
	;;#ASMEND
	;;#ASMSTART
	
             v_fmac_f32 v99, v50, v35 
             
	;;#ASMEND
	;;#ASMSTART
	
             v_fmac_f32 v96, v50, v36 
             
	;;#ASMEND
	;;#ASMSTART
	
             v_fmac_f32 v97, v50, v37 
             
	;;#ASMEND
	;;#ASMSTART
	
             v_fmac_f32 v114, v51, v34 
             
	;;#ASMEND
	;;#ASMSTART
	
             v_fmac_f32 v115, v51, v35 
             
	;;#ASMEND
	;;#ASMSTART
	
             v_fmac_f32 v112, v51, v36 
             
	;;#ASMEND
	;;#ASMSTART
	
             v_fmac_f32 v113, v51, v37 
             
	;;#ASMEND
	ds_read_b128 v[34:37], v95 offset:22528
	;;#ASMSTART
	
             v_fmac_f32 v56, v48, v26 
             
	;;#ASMEND
	;;#ASMSTART
	
             v_fmac_f32 v57, v48, v27 
             
	;;#ASMEND
	;; [unrolled: 5-line block ×16, first 2 shown]
	ds_read_b128 v[26:29], v95 offset:22784
	ds_read_b128 v[48:51], v94 offset:6400
	s_waitcnt lgkmcnt(2)
	;;#ASMSTART
	
             v_fmac_f32 v90, v30, v34 
             
	;;#ASMEND
	;;#ASMSTART
	
             v_fmac_f32 v91, v30, v35 
             
	;;#ASMEND
	;; [unrolled: 5-line block ×16, first 2 shown]
	s_waitcnt lgkmcnt(1)
	;;#ASMSTART
	
             v_fmac_f32 v88, v30, v26 
             
	;;#ASMEND
	;;#ASMSTART
	
             v_fmac_f32 v89, v30, v27 
             
	;;#ASMEND
	;; [unrolled: 5-line block ×16, first 2 shown]
	ds_read_b128 v[30:33], v94 offset:6656
	s_waitcnt lgkmcnt(1)
	;;#ASMSTART
	
             v_fmac_f32 v60, v48, v34 
             
	;;#ASMEND
	;;#ASMSTART
	
             v_fmac_f32 v61, v48, v35 
             
	;;#ASMEND
	;; [unrolled: 5-line block ×16, first 2 shown]
	ds_read_b128 v[34:37], v95 offset:23040
	;;#ASMSTART
	
             v_fmac_f32 v56, v48, v26 
             
	;;#ASMEND
	;;#ASMSTART
	
             v_fmac_f32 v57, v48, v27 
             
	;;#ASMEND
	;; [unrolled: 5-line block ×16, first 2 shown]
	ds_read_b128 v[26:29], v95 offset:23296
	ds_read_b128 v[48:51], v94 offset:6912
	s_waitcnt lgkmcnt(2)
	;;#ASMSTART
	
             v_fmac_f32 v90, v30, v34 
             
	;;#ASMEND
	;;#ASMSTART
	
             v_fmac_f32 v91, v30, v35 
             
	;;#ASMEND
	;; [unrolled: 5-line block ×16, first 2 shown]
	s_waitcnt lgkmcnt(1)
	;;#ASMSTART
	
             v_fmac_f32 v88, v30, v26 
             
	;;#ASMEND
	;;#ASMSTART
	
             v_fmac_f32 v89, v30, v27 
             
	;;#ASMEND
	;; [unrolled: 5-line block ×16, first 2 shown]
	ds_read_b128 v[30:33], v94 offset:7168
	s_waitcnt lgkmcnt(1)
	;;#ASMSTART
	
             v_fmac_f32 v60, v48, v34 
             
	;;#ASMEND
	;;#ASMSTART
	
             v_fmac_f32 v61, v48, v35 
             
	;;#ASMEND
	;;#ASMSTART
	
             v_fmac_f32 v58, v48, v36 
             
	;;#ASMEND
	;;#ASMSTART
	
             v_fmac_f32 v59, v48, v37 
             
	;;#ASMEND
	;;#ASMSTART
	
             v_fmac_f32 v44, v49, v34 
             
	;;#ASMEND
	;;#ASMSTART
	
             v_fmac_f32 v45, v49, v35 
             
	;;#ASMEND
	;;#ASMSTART
	
             v_fmac_f32 v42, v49, v36 
             
	;;#ASMEND
	;;#ASMSTART
	
             v_fmac_f32 v43, v49, v37 
             
	;;#ASMEND
	;;#ASMSTART
	
             v_fmac_f32 v98, v50, v34 
             
	;;#ASMEND
	;;#ASMSTART
	
             v_fmac_f32 v99, v50, v35 
             
	;;#ASMEND
	;;#ASMSTART
	
             v_fmac_f32 v96, v50, v36 
             
	;;#ASMEND
	;;#ASMSTART
	
             v_fmac_f32 v97, v50, v37 
             
	;;#ASMEND
	;;#ASMSTART
	
             v_fmac_f32 v114, v51, v34 
             
	;;#ASMEND
	;;#ASMSTART
	
             v_fmac_f32 v115, v51, v35 
             
	;;#ASMEND
	;;#ASMSTART
	
             v_fmac_f32 v112, v51, v36 
             
	;;#ASMEND
	;;#ASMSTART
	
             v_fmac_f32 v113, v51, v37 
             
	;;#ASMEND
	ds_read_b128 v[34:37], v95 offset:23552
	;;#ASMSTART
	
             v_fmac_f32 v56, v48, v26 
             
	;;#ASMEND
	;;#ASMSTART
	
             v_fmac_f32 v57, v48, v27 
             
	;;#ASMEND
	;; [unrolled: 5-line block ×16, first 2 shown]
	ds_read_b128 v[26:29], v95 offset:23808
	ds_read_b128 v[48:51], v94 offset:7424
	s_waitcnt lgkmcnt(2)
	;;#ASMSTART
	
             v_fmac_f32 v90, v30, v34 
             
	;;#ASMEND
	;;#ASMSTART
	
             v_fmac_f32 v91, v30, v35 
             
	;;#ASMEND
	;; [unrolled: 5-line block ×16, first 2 shown]
	s_waitcnt lgkmcnt(1)
	;;#ASMSTART
	
             v_fmac_f32 v88, v30, v26 
             
	;;#ASMEND
	;;#ASMSTART
	
             v_fmac_f32 v89, v30, v27 
             
	;;#ASMEND
	;; [unrolled: 5-line block ×16, first 2 shown]
	ds_read_b128 v[30:33], v94 offset:7680
	s_waitcnt lgkmcnt(1)
	;;#ASMSTART
	
             v_fmac_f32 v60, v48, v34 
             
	;;#ASMEND
	;;#ASMSTART
	
             v_fmac_f32 v61, v48, v35 
             
	;;#ASMEND
	;; [unrolled: 5-line block ×16, first 2 shown]
	ds_read_b128 v[34:37], v95 offset:24064
	;;#ASMSTART
	
             v_fmac_f32 v56, v48, v26 
             
	;;#ASMEND
	;;#ASMSTART
	
             v_fmac_f32 v57, v48, v27 
             
	;;#ASMEND
	;;#ASMSTART
	
             v_fmac_f32 v46, v48, v28 
             
	;;#ASMEND
	;;#ASMSTART
	
             v_fmac_f32 v47, v48, v29 
             
	;;#ASMEND
	;;#ASMSTART
	
             v_fmac_f32 v86, v49, v26 
             
	;;#ASMEND
	;;#ASMSTART
	
             v_fmac_f32 v87, v49, v27 
             
	;;#ASMEND
	;;#ASMSTART
	
             v_fmac_f32 v84, v49, v28 
             
	;;#ASMEND
	;;#ASMSTART
	
             v_fmac_f32 v85, v49, v29 
             
	;;#ASMEND
	;;#ASMSTART
	
             v_fmac_f32 v102, v50, v26 
             
	;;#ASMEND
	;;#ASMSTART
	
             v_fmac_f32 v103, v50, v27 
             
	;;#ASMEND
	;;#ASMSTART
	
             v_fmac_f32 v100, v50, v28 
             
	;;#ASMEND
	;;#ASMSTART
	
             v_fmac_f32 v101, v50, v29 
             
	;;#ASMEND
	;;#ASMSTART
	
             v_fmac_f32 v118, v51, v26 
             
	;;#ASMEND
	;;#ASMSTART
	
             v_fmac_f32 v119, v51, v27 
             
	;;#ASMEND
	;;#ASMSTART
	
             v_fmac_f32 v40, v51, v28 
             
	;;#ASMEND
	;;#ASMSTART
	
             v_fmac_f32 v41, v51, v29 
             
	;;#ASMEND
	ds_read_b128 v[26:29], v95 offset:24320
	ds_read_b128 v[48:51], v94 offset:7936
	s_waitcnt lgkmcnt(2)
	;;#ASMSTART
	
             v_fmac_f32 v90, v30, v34 
             
	;;#ASMEND
	;;#ASMSTART
	
             v_fmac_f32 v91, v30, v35 
             
	;;#ASMEND
	;; [unrolled: 5-line block ×16, first 2 shown]
	s_waitcnt lgkmcnt(1)
	;;#ASMSTART
	
             v_fmac_f32 v88, v30, v26 
             
	;;#ASMEND
	;;#ASMSTART
	
             v_fmac_f32 v89, v30, v27 
             
	;;#ASMEND
	;; [unrolled: 5-line block ×16, first 2 shown]
	s_waitcnt lgkmcnt(0)
	;;#ASMSTART
	
             v_fmac_f32 v60, v48, v34 
             
	;;#ASMEND
	;;#ASMSTART
	
             v_fmac_f32 v61, v48, v35 
             
	;;#ASMEND
	;; [unrolled: 5-line block ×32, first 2 shown]
	flat_load_dword v26, v[8:9] offset:216
	flat_load_dwordx2 v[36:37], v[8:9] offset:172
	flat_load_dwordx2 v[34:35], v[8:9] offset:160
	v_accvgpr_read_b32 v27, a9
	v_cndmask_b32_e32 v19, 0, v19, vcc
	v_cndmask_b32_e32 v18, 0, v18, vcc
	v_cndmask_b32_e32 v17, 0, v17, vcc
	ds_write2st64_b32 v27, v108, v14 offset0:2 offset1:4
	ds_write2st64_b32 v27, v15, v16 offset0:6 offset1:8
	;; [unrolled: 1-line block ×3, first 2 shown]
	ds_write_b32 v27, v19 offset:3584
	flat_load_dwordx2 v[48:49], v[8:9] offset:148
	v_accvgpr_read_b32 v14, a7
	v_accvgpr_read_b32 v15, a8
	ds_write2st64_b32 v14, v107, v125 offset0:32 offset1:96
	ds_write2st64_b32 v15, v124, v123 offset0:2 offset1:4
	;; [unrolled: 1-line block ×3, first 2 shown]
	flat_load_dword v105, v[8:9] offset:92
	flat_load_dword v14, v[8:9] offset:76
	ds_write2st64_b32 v15, v117, v127 offset0:10 offset1:12
	ds_write_b32 v15, v126 offset:3584
	flat_load_dword v33, v[10:11] offset:48
	flat_load_dword v106, v[8:9] offset:200
	;; [unrolled: 1-line block ×3, first 2 shown]
	flat_load_dwordx4 v[16:19], v[8:9] offset:36
	flat_load_dwordx2 v[50:51], v[8:9] offset:52
	flat_load_dwordx3 v[30:32], v[8:9] offset:20
	s_waitcnt vmcnt(0) lgkmcnt(0)
	v_mul_lo_u32 v15, v26, 12
	v_add_u32_e32 v28, v15, v111
	v_add_u32_e32 v15, v15, v120
	v_mul_hi_u32 v29, v15, v35
	v_add_u32_e32 v29, v15, v29
	v_lshrrev_b32_e32 v29, v37, v29
	v_mul_hi_u32 v117, v29, v34
	v_add_u32_e32 v117, v29, v117
	v_lshrrev_b32_e32 v110, v36, v117
	v_mul_lo_u32 v117, v110, v48
	v_sub_u32_e32 v120, v29, v117
	v_sub_u32_e32 v117, v110, v109
	;; [unrolled: 1-line block ×3, first 2 shown]
	v_mul_lo_u32 v107, v13, v105
	v_mul_lo_u32 v108, v117, v14
	;; [unrolled: 1-line block ×3, first 2 shown]
	v_add_u32_e32 v122, v108, v12
	v_sub_u32_e32 v19, v19, v51
	v_sub_u32_e32 v18, v16, v18
	v_sub_u32_e32 v51, v15, v13
	v_cmp_le_i32_e64 s[6:7], v17, v122
	v_cmp_gt_i32_e64 s[8:9], v18, v122
	v_sub_u32_e32 v1, v51, v1
	s_and_b64 s[10:11], s[6:7], s[8:9]
	v_add_u32_e32 v13, v107, v116
	v_mad_u64_u32 v[0:1], s[6:7], v32, v1, v[0:1]
	v_mul_lo_u32 v12, v33, 12
	v_cmp_le_i32_e64 s[6:7], v50, v13
	v_cmp_gt_i32_e64 s[8:9], v19, v13
	v_add_u32_e32 v117, v12, v92
	v_add_u32_e32 v104, v12, v121
	v_cmp_lt_i32_e64 s[4:5], v28, v106
	v_accvgpr_read_b32 v12, a11
	s_and_b64 s[6:7], s[6:7], s[8:9]
	v_cmp_lt_i32_e32 vcc, v12, v27
	v_lshlrev_b32_e32 v12, 2, v26
	v_mul_lo_u32 v16, v108, v30
	v_mul_lo_u32 v26, v107, v31
	s_and_b64 s[4:5], s[4:5], s[6:7]
	v_add3_u32 v16, v0, v16, v26
	s_and_b64 s[4:5], s[4:5], s[10:11]
	v_add_u32_e32 v93, v12, v28
	s_and_b64 s[4:5], vcc, s[4:5]
	v_lshlrev_b32_e32 v0, 2, v16
	s_mov_b64 s[10:11], exec
.LBB7_18:                               ;   Parent Loop BB7_9 Depth=1
                                        ; =>  This Inner Loop Header: Depth=2
	v_readfirstlane_b32 s12, v22
	v_readfirstlane_b32 s13, v23
	;; [unrolled: 1-line block ×4, first 2 shown]
	v_cmp_eq_u64_e64 s[6:7], s[12:13], v[22:23]
	v_cmp_eq_u64_e64 s[8:9], s[14:15], v[24:25]
	s_and_b64 s[6:7], s[6:7], s[8:9]
	s_and_saveexec_b64 s[6:7], s[6:7]
	s_nop 0
	buffer_load_dwordx4 v[26:29], v0, s[12:15], 0 offen
                                        ; implicit-def: $vgpr0
	s_xor_b64 exec, exec, s[6:7]
	s_cbranch_execnz .LBB7_18
; %bb.19:                               ;   in Loop: Header=BB7_9 Depth=1
	s_mov_b64 exec, s[10:11]
	v_add_u32_e32 v15, v12, v15
	v_mul_hi_u32 v0, v15, v35
	v_add_u32_e32 v0, v15, v0
	v_lshrrev_b32_e32 v0, v37, v0
	v_mul_hi_u32 v1, v0, v34
	v_add_u32_e32 v1, v0, v1
	v_lshrrev_b32_e32 v12, v36, v1
	v_mul_lo_u32 v1, v12, v48
	s_waitcnt vmcnt(0)
	v_cndmask_b32_e64 v111, 0, v26, s[4:5]
	v_mul_lo_u32 v26, v0, v49
	v_sub_u32_e32 v0, v0, v1
	v_cndmask_b32_e64 v109, 0, v27, s[4:5]
	v_sub_u32_e32 v27, v0, v120
	v_sub_u32_e32 v1, v15, v26
	v_mul_lo_u32 v27, v27, v105
	v_cndmask_b32_e64 v108, 0, v28, s[4:5]
	v_sub_u32_e32 v26, v1, v51
	v_sub_u32_e32 v28, v12, v110
	v_add_u32_e32 v13, v27, v13
	v_cndmask_b32_e64 v107, 0, v29, s[4:5]
	v_mul_lo_u32 v28, v28, v14
	v_mul_lo_u32 v29, v27, v31
	v_mad_u64_u32 v[26:27], s[4:5], v32, v26, v[16:17]
	v_cmp_le_i32_e64 s[6:7], v50, v13
	v_cmp_gt_i32_e64 s[8:9], v19, v13
	v_add_u32_e32 v14, v28, v122
	v_cmp_lt_i32_e64 s[4:5], v93, v106
	s_and_b64 s[6:7], s[6:7], s[8:9]
	s_and_b64 s[8:9], s[4:5], s[6:7]
	v_cmp_le_i32_e64 s[4:5], v17, v14
	v_cmp_gt_i32_e64 s[6:7], v18, v14
	v_mul_lo_u32 v28, v28, v30
	s_and_b64 s[4:5], s[4:5], s[6:7]
	v_add3_u32 v92, v26, v28, v29
	s_and_b64 s[4:5], s[4:5], s[8:9]
	v_lshlrev_b32_e32 v26, 2, v92
	s_and_b64 vcc, vcc, s[4:5]
	s_mov_b64 s[12:13], exec
.LBB7_20:                               ;   Parent Loop BB7_9 Depth=1
                                        ; =>  This Inner Loop Header: Depth=2
	v_readfirstlane_b32 s8, v22
	v_readfirstlane_b32 s9, v23
	;; [unrolled: 1-line block ×4, first 2 shown]
	v_cmp_eq_u64_e64 s[4:5], s[8:9], v[22:23]
	v_cmp_eq_u64_e64 s[6:7], s[10:11], v[24:25]
	s_and_b64 s[4:5], s[4:5], s[6:7]
	s_and_saveexec_b64 s[4:5], s[4:5]
	s_nop 0
	buffer_load_dwordx4 v[16:19], v26, s[8:11], 0 offen
                                        ; implicit-def: $vgpr26
	s_xor_b64 exec, exec, s[4:5]
	s_cbranch_execnz .LBB7_20
; %bb.21:                               ;   in Loop: Header=BB7_9 Depth=1
	s_mov_b64 exec, s[12:13]
	flat_load_dword v26, v[10:11] offset:32
	flat_load_dword v28, v[10:11] offset:20
	s_waitcnt vmcnt(0)
	v_cndmask_b32_e32 v123, 0, v16, vcc
	v_accvgpr_read_b32 v16, a10
	v_cndmask_b32_e32 v120, 0, v19, vcc
	v_cndmask_b32_e32 v121, 0, v18, vcc
	v_cndmask_b32_e32 v122, 0, v17, vcc
	v_lshlrev_b32_e32 v27, 2, v104
	s_mov_b64 s[10:11], exec
	s_waitcnt lgkmcnt(0)
	v_cmp_gt_i32_e64 s[4:5], v26, v117
	v_cmp_gt_i32_e32 vcc, v28, v16
	s_and_b64 s[4:5], vcc, s[4:5]
.LBB7_22:                               ;   Parent Loop BB7_9 Depth=1
                                        ; =>  This Inner Loop Header: Depth=2
	v_readfirstlane_b32 s12, v2
	v_readfirstlane_b32 s13, v3
	;; [unrolled: 1-line block ×4, first 2 shown]
	v_cmp_eq_u64_e64 s[6:7], s[12:13], v[2:3]
	v_cmp_eq_u64_e64 s[8:9], s[14:15], v[4:5]
	s_and_b64 s[6:7], s[6:7], s[8:9]
	s_and_saveexec_b64 s[6:7], s[6:7]
	s_nop 0
	buffer_load_dwordx4 v[16:19], v27, s[12:15], 0 offen
                                        ; implicit-def: $vgpr27
	s_xor_b64 exec, exec, s[6:7]
	s_cbranch_execnz .LBB7_22
; %bb.23:                               ;   in Loop: Header=BB7_9 Depth=1
	s_mov_b64 exec, s[10:11]
	s_waitcnt vmcnt(0)
	v_cndmask_b32_e64 v127, 0, v16, s[4:5]
	v_lshlrev_b32_e32 v16, 2, v33
	v_add_u32_e32 v116, v16, v117
	v_cndmask_b32_e64 v124, 0, v19, s[4:5]
	v_cndmask_b32_e64 v125, 0, v18, s[4:5]
	;; [unrolled: 1-line block ×3, first 2 shown]
	v_add_u32_e32 v117, v16, v104
	v_cmp_gt_i32_e64 s[4:5], v26, v116
	v_lshlrev_b32_e32 v27, 2, v117
	s_and_b64 vcc, vcc, s[4:5]
	s_mov_b64 s[12:13], exec
.LBB7_24:                               ;   Parent Loop BB7_9 Depth=1
                                        ; =>  This Inner Loop Header: Depth=2
	v_readfirstlane_b32 s8, v2
	v_readfirstlane_b32 s9, v3
	;; [unrolled: 1-line block ×4, first 2 shown]
	v_cmp_eq_u64_e64 s[4:5], s[8:9], v[2:3]
	v_cmp_eq_u64_e64 s[6:7], s[10:11], v[4:5]
	s_and_b64 s[4:5], s[4:5], s[6:7]
	s_and_saveexec_b64 s[4:5], s[4:5]
	s_nop 0
	buffer_load_dwordx4 v[16:19], v27, s[8:11], 0 offen
                                        ; implicit-def: $vgpr27
	s_xor_b64 exec, exec, s[4:5]
	s_cbranch_execnz .LBB7_24
; %bb.25:                               ;   in Loop: Header=BB7_9 Depth=1
	s_mov_b64 exec, s[12:13]
	s_waitcnt vmcnt(0)
	v_cndmask_b32_e32 v105, 0, v19, vcc
	v_cndmask_b32_e32 v106, 0, v18, vcc
	s_waitcnt lgkmcnt(0)
	s_barrier
	ds_read_b128 v[26:29], v94 offset:8192
	ds_read_b128 v[30:33], v95 offset:24576
	v_cndmask_b32_e32 v110, 0, v17, vcc
	v_cndmask_b32_e32 v104, 0, v16, vcc
	ds_read_b128 v[16:19], v95 offset:24832
	ds_read_b128 v[34:37], v94 offset:8448
	s_waitcnt lgkmcnt(2)
	;;#ASMSTART
	
             v_fmac_f32 v90, v26, v30 
             
	;;#ASMEND
	;;#ASMSTART
	
             v_fmac_f32 v91, v26, v31 
             
	;;#ASMEND
	;; [unrolled: 5-line block ×16, first 2 shown]
	s_waitcnt lgkmcnt(1)
	;;#ASMSTART
	
             v_fmac_f32 v88, v26, v16 
             
	;;#ASMEND
	;;#ASMSTART
	
             v_fmac_f32 v89, v26, v17 
             
	;;#ASMEND
	;; [unrolled: 5-line block ×16, first 2 shown]
	ds_read_b128 v[26:29], v94 offset:8704
	s_waitcnt lgkmcnt(1)
	;;#ASMSTART
	
             v_fmac_f32 v60, v34, v30 
             
	;;#ASMEND
	;;#ASMSTART
	
             v_fmac_f32 v61, v34, v31 
             
	;;#ASMEND
	;; [unrolled: 5-line block ×16, first 2 shown]
	ds_read_b128 v[30:33], v95 offset:25088
	;;#ASMSTART
	
             v_fmac_f32 v56, v34, v16 
             
	;;#ASMEND
	;;#ASMSTART
	
             v_fmac_f32 v57, v34, v17 
             
	;;#ASMEND
	;; [unrolled: 5-line block ×16, first 2 shown]
	ds_read_b128 v[16:19], v95 offset:25344
	ds_read_b128 v[34:37], v94 offset:8960
	s_waitcnt lgkmcnt(2)
	;;#ASMSTART
	
             v_fmac_f32 v90, v26, v30 
             
	;;#ASMEND
	;;#ASMSTART
	
             v_fmac_f32 v91, v26, v31 
             
	;;#ASMEND
	;; [unrolled: 5-line block ×16, first 2 shown]
	s_waitcnt lgkmcnt(1)
	;;#ASMSTART
	
             v_fmac_f32 v88, v26, v16 
             
	;;#ASMEND
	;;#ASMSTART
	
             v_fmac_f32 v89, v26, v17 
             
	;;#ASMEND
	;; [unrolled: 5-line block ×16, first 2 shown]
	ds_read_b128 v[26:29], v94 offset:9216
	s_waitcnt lgkmcnt(1)
	;;#ASMSTART
	
             v_fmac_f32 v60, v34, v30 
             
	;;#ASMEND
	;;#ASMSTART
	
             v_fmac_f32 v61, v34, v31 
             
	;;#ASMEND
	;; [unrolled: 5-line block ×16, first 2 shown]
	ds_read_b128 v[30:33], v95 offset:25600
	;;#ASMSTART
	
             v_fmac_f32 v56, v34, v16 
             
	;;#ASMEND
	;;#ASMSTART
	
             v_fmac_f32 v57, v34, v17 
             
	;;#ASMEND
	;; [unrolled: 5-line block ×16, first 2 shown]
	ds_read_b128 v[16:19], v95 offset:25856
	ds_read_b128 v[34:37], v94 offset:9472
	s_waitcnt lgkmcnt(2)
	;;#ASMSTART
	
             v_fmac_f32 v90, v26, v30 
             
	;;#ASMEND
	;;#ASMSTART
	
             v_fmac_f32 v91, v26, v31 
             
	;;#ASMEND
	;;#ASMSTART
	
             v_fmac_f32 v38, v26, v32 
             
	;;#ASMEND
	;;#ASMSTART
	
             v_fmac_f32 v39, v26, v33 
             
	;;#ASMEND
	;;#ASMSTART
	
             v_fmac_f32 v76, v27, v30 
             
	;;#ASMEND
	;;#ASMSTART
	
             v_fmac_f32 v77, v27, v31 
             
	;;#ASMEND
	;;#ASMSTART
	
             v_fmac_f32 v74, v27, v32 
             
	;;#ASMEND
	;;#ASMSTART
	
             v_fmac_f32 v75, v27, v33 
             
	;;#ASMEND
	;;#ASMSTART
	
             v_fmac_f32 v54, v28, v30 
             
	;;#ASMEND
	;;#ASMSTART
	
             v_fmac_f32 v55, v28, v31 
             
	;;#ASMEND
	;;#ASMSTART
	
             v_fmac_f32 v52, v28, v32 
             
	;;#ASMEND
	;;#ASMSTART
	
             v_fmac_f32 v53, v28, v33 
             
	;;#ASMEND
	;;#ASMSTART
	
             v_fmac_f32 v72, v29, v30 
             
	;;#ASMEND
	;;#ASMSTART
	
             v_fmac_f32 v73, v29, v31 
             
	;;#ASMEND
	;;#ASMSTART
	
             v_fmac_f32 v62, v29, v32 
             
	;;#ASMEND
	;;#ASMSTART
	
             v_fmac_f32 v63, v29, v33 
             
	;;#ASMEND
	s_waitcnt lgkmcnt(1)
	;;#ASMSTART
	
             v_fmac_f32 v88, v26, v16 
             
	;;#ASMEND
	;;#ASMSTART
	
             v_fmac_f32 v89, v26, v17 
             
	;;#ASMEND
	;; [unrolled: 5-line block ×16, first 2 shown]
	ds_read_b128 v[26:29], v94 offset:9728
	s_waitcnt lgkmcnt(1)
	;;#ASMSTART
	
             v_fmac_f32 v60, v34, v30 
             
	;;#ASMEND
	;;#ASMSTART
	
             v_fmac_f32 v61, v34, v31 
             
	;;#ASMEND
	;; [unrolled: 5-line block ×16, first 2 shown]
	ds_read_b128 v[30:33], v95 offset:26112
	;;#ASMSTART
	
             v_fmac_f32 v56, v34, v16 
             
	;;#ASMEND
	;;#ASMSTART
	
             v_fmac_f32 v57, v34, v17 
             
	;;#ASMEND
	;; [unrolled: 5-line block ×16, first 2 shown]
	ds_read_b128 v[16:19], v95 offset:26368
	ds_read_b128 v[34:37], v94 offset:9984
	s_waitcnt lgkmcnt(2)
	;;#ASMSTART
	
             v_fmac_f32 v90, v26, v30 
             
	;;#ASMEND
	;;#ASMSTART
	
             v_fmac_f32 v91, v26, v31 
             
	;;#ASMEND
	;; [unrolled: 5-line block ×16, first 2 shown]
	s_waitcnt lgkmcnt(1)
	;;#ASMSTART
	
             v_fmac_f32 v88, v26, v16 
             
	;;#ASMEND
	;;#ASMSTART
	
             v_fmac_f32 v89, v26, v17 
             
	;;#ASMEND
	;;#ASMSTART
	
             v_fmac_f32 v78, v26, v18 
             
	;;#ASMEND
	;;#ASMSTART
	
             v_fmac_f32 v79, v26, v19 
             
	;;#ASMEND
	;;#ASMSTART
	
             v_fmac_f32 v70, v27, v16 
             
	;;#ASMEND
	;;#ASMSTART
	
             v_fmac_f32 v71, v27, v17 
             
	;;#ASMEND
	;;#ASMSTART
	
             v_fmac_f32 v68, v27, v18 
             
	;;#ASMEND
	;;#ASMSTART
	
             v_fmac_f32 v69, v27, v19 
             
	;;#ASMEND
	;;#ASMSTART
	
             v_fmac_f32 v66, v28, v16 
             
	;;#ASMEND
	;;#ASMSTART
	
             v_fmac_f32 v67, v28, v17 
             
	;;#ASMEND
	;;#ASMSTART
	
             v_fmac_f32 v64, v28, v18 
             
	;;#ASMEND
	;;#ASMSTART
	
             v_fmac_f32 v65, v28, v19 
             
	;;#ASMEND
	;;#ASMSTART
	
             v_fmac_f32 v82, v29, v16 
             
	;;#ASMEND
	;;#ASMSTART
	
             v_fmac_f32 v83, v29, v17 
             
	;;#ASMEND
	;;#ASMSTART
	
             v_fmac_f32 v80, v29, v18 
             
	;;#ASMEND
	;;#ASMSTART
	
             v_fmac_f32 v81, v29, v19 
             
	;;#ASMEND
	ds_read_b128 v[26:29], v94 offset:10240
	s_waitcnt lgkmcnt(1)
	;;#ASMSTART
	
             v_fmac_f32 v60, v34, v30 
             
	;;#ASMEND
	;;#ASMSTART
	
             v_fmac_f32 v61, v34, v31 
             
	;;#ASMEND
	;;#ASMSTART
	
             v_fmac_f32 v58, v34, v32 
             
	;;#ASMEND
	;;#ASMSTART
	
             v_fmac_f32 v59, v34, v33 
             
	;;#ASMEND
	;;#ASMSTART
	
             v_fmac_f32 v44, v35, v30 
             
	;;#ASMEND
	;;#ASMSTART
	
             v_fmac_f32 v45, v35, v31 
             
	;;#ASMEND
	;;#ASMSTART
	
             v_fmac_f32 v42, v35, v32 
             
	;;#ASMEND
	;;#ASMSTART
	
             v_fmac_f32 v43, v35, v33 
             
	;;#ASMEND
	;;#ASMSTART
	
             v_fmac_f32 v98, v36, v30 
             
	;;#ASMEND
	;;#ASMSTART
	
             v_fmac_f32 v99, v36, v31 
             
	;;#ASMEND
	;;#ASMSTART
	
             v_fmac_f32 v96, v36, v32 
             
	;;#ASMEND
	;;#ASMSTART
	
             v_fmac_f32 v97, v36, v33 
             
	;;#ASMEND
	;;#ASMSTART
	
             v_fmac_f32 v114, v37, v30 
             
	;;#ASMEND
	;;#ASMSTART
	
             v_fmac_f32 v115, v37, v31 
             
	;;#ASMEND
	;;#ASMSTART
	
             v_fmac_f32 v112, v37, v32 
             
	;;#ASMEND
	;;#ASMSTART
	
             v_fmac_f32 v113, v37, v33 
             
	;;#ASMEND
	ds_read_b128 v[30:33], v95 offset:26624
	;;#ASMSTART
	
             v_fmac_f32 v56, v34, v16 
             
	;;#ASMEND
	;;#ASMSTART
	
             v_fmac_f32 v57, v34, v17 
             
	;;#ASMEND
	;; [unrolled: 5-line block ×16, first 2 shown]
	ds_read_b128 v[16:19], v95 offset:26880
	ds_read_b128 v[34:37], v94 offset:10496
	s_waitcnt lgkmcnt(2)
	;;#ASMSTART
	
             v_fmac_f32 v90, v26, v30 
             
	;;#ASMEND
	;;#ASMSTART
	
             v_fmac_f32 v91, v26, v31 
             
	;;#ASMEND
	;; [unrolled: 5-line block ×16, first 2 shown]
	s_waitcnt lgkmcnt(1)
	;;#ASMSTART
	
             v_fmac_f32 v88, v26, v16 
             
	;;#ASMEND
	;;#ASMSTART
	
             v_fmac_f32 v89, v26, v17 
             
	;;#ASMEND
	;; [unrolled: 5-line block ×16, first 2 shown]
	ds_read_b128 v[26:29], v94 offset:10752
	s_waitcnt lgkmcnt(1)
	;;#ASMSTART
	
             v_fmac_f32 v60, v34, v30 
             
	;;#ASMEND
	;;#ASMSTART
	
             v_fmac_f32 v61, v34, v31 
             
	;;#ASMEND
	;; [unrolled: 5-line block ×16, first 2 shown]
	ds_read_b128 v[30:33], v95 offset:27136
	;;#ASMSTART
	
             v_fmac_f32 v56, v34, v16 
             
	;;#ASMEND
	;;#ASMSTART
	
             v_fmac_f32 v57, v34, v17 
             
	;;#ASMEND
	;; [unrolled: 5-line block ×16, first 2 shown]
	ds_read_b128 v[16:19], v95 offset:27392
	ds_read_b128 v[34:37], v94 offset:11008
	s_waitcnt lgkmcnt(2)
	;;#ASMSTART
	
             v_fmac_f32 v90, v26, v30 
             
	;;#ASMEND
	;;#ASMSTART
	
             v_fmac_f32 v91, v26, v31 
             
	;;#ASMEND
	;; [unrolled: 5-line block ×16, first 2 shown]
	s_waitcnt lgkmcnt(1)
	;;#ASMSTART
	
             v_fmac_f32 v88, v26, v16 
             
	;;#ASMEND
	;;#ASMSTART
	
             v_fmac_f32 v89, v26, v17 
             
	;;#ASMEND
	;;#ASMSTART
	
             v_fmac_f32 v78, v26, v18 
             
	;;#ASMEND
	;;#ASMSTART
	
             v_fmac_f32 v79, v26, v19 
             
	;;#ASMEND
	;;#ASMSTART
	
             v_fmac_f32 v70, v27, v16 
             
	;;#ASMEND
	;;#ASMSTART
	
             v_fmac_f32 v71, v27, v17 
             
	;;#ASMEND
	;;#ASMSTART
	
             v_fmac_f32 v68, v27, v18 
             
	;;#ASMEND
	;;#ASMSTART
	
             v_fmac_f32 v69, v27, v19 
             
	;;#ASMEND
	;;#ASMSTART
	
             v_fmac_f32 v66, v28, v16 
             
	;;#ASMEND
	;;#ASMSTART
	
             v_fmac_f32 v67, v28, v17 
             
	;;#ASMEND
	;;#ASMSTART
	
             v_fmac_f32 v64, v28, v18 
             
	;;#ASMEND
	;;#ASMSTART
	
             v_fmac_f32 v65, v28, v19 
             
	;;#ASMEND
	;;#ASMSTART
	
             v_fmac_f32 v82, v29, v16 
             
	;;#ASMEND
	;;#ASMSTART
	
             v_fmac_f32 v83, v29, v17 
             
	;;#ASMEND
	;;#ASMSTART
	
             v_fmac_f32 v80, v29, v18 
             
	;;#ASMEND
	;;#ASMSTART
	
             v_fmac_f32 v81, v29, v19 
             
	;;#ASMEND
	ds_read_b128 v[26:29], v94 offset:11264
	s_waitcnt lgkmcnt(1)
	;;#ASMSTART
	
             v_fmac_f32 v60, v34, v30 
             
	;;#ASMEND
	;;#ASMSTART
	
             v_fmac_f32 v61, v34, v31 
             
	;;#ASMEND
	;; [unrolled: 5-line block ×16, first 2 shown]
	ds_read_b128 v[30:33], v95 offset:27648
	;;#ASMSTART
	
             v_fmac_f32 v56, v34, v16 
             
	;;#ASMEND
	;;#ASMSTART
	
             v_fmac_f32 v57, v34, v17 
             
	;;#ASMEND
	;; [unrolled: 5-line block ×16, first 2 shown]
	ds_read_b128 v[16:19], v95 offset:27904
	ds_read_b128 v[34:37], v94 offset:11520
	s_waitcnt lgkmcnt(2)
	;;#ASMSTART
	
             v_fmac_f32 v90, v26, v30 
             
	;;#ASMEND
	;;#ASMSTART
	
             v_fmac_f32 v91, v26, v31 
             
	;;#ASMEND
	;; [unrolled: 5-line block ×16, first 2 shown]
	s_waitcnt lgkmcnt(1)
	;;#ASMSTART
	
             v_fmac_f32 v88, v26, v16 
             
	;;#ASMEND
	;;#ASMSTART
	
             v_fmac_f32 v89, v26, v17 
             
	;;#ASMEND
	;; [unrolled: 5-line block ×16, first 2 shown]
	ds_read_b128 v[26:29], v94 offset:11776
	s_waitcnt lgkmcnt(1)
	;;#ASMSTART
	
             v_fmac_f32 v60, v34, v30 
             
	;;#ASMEND
	;;#ASMSTART
	
             v_fmac_f32 v61, v34, v31 
             
	;;#ASMEND
	;; [unrolled: 5-line block ×16, first 2 shown]
	ds_read_b128 v[30:33], v95 offset:28160
	;;#ASMSTART
	
             v_fmac_f32 v56, v34, v16 
             
	;;#ASMEND
	;;#ASMSTART
	
             v_fmac_f32 v57, v34, v17 
             
	;;#ASMEND
	;; [unrolled: 5-line block ×16, first 2 shown]
	ds_read_b128 v[16:19], v95 offset:28416
	ds_read_b128 v[34:37], v94 offset:12032
	s_waitcnt lgkmcnt(2)
	;;#ASMSTART
	
             v_fmac_f32 v90, v26, v30 
             
	;;#ASMEND
	;;#ASMSTART
	
             v_fmac_f32 v91, v26, v31 
             
	;;#ASMEND
	;; [unrolled: 5-line block ×16, first 2 shown]
	s_waitcnt lgkmcnt(1)
	;;#ASMSTART
	
             v_fmac_f32 v88, v26, v16 
             
	;;#ASMEND
	;;#ASMSTART
	
             v_fmac_f32 v89, v26, v17 
             
	;;#ASMEND
	;; [unrolled: 5-line block ×16, first 2 shown]
	ds_read_b128 v[26:29], v94 offset:12288
	s_waitcnt lgkmcnt(1)
	;;#ASMSTART
	
             v_fmac_f32 v60, v34, v30 
             
	;;#ASMEND
	;;#ASMSTART
	
             v_fmac_f32 v61, v34, v31 
             
	;;#ASMEND
	;; [unrolled: 5-line block ×16, first 2 shown]
	ds_read_b128 v[30:33], v95 offset:28672
	;;#ASMSTART
	
             v_fmac_f32 v56, v34, v16 
             
	;;#ASMEND
	;;#ASMSTART
	
             v_fmac_f32 v57, v34, v17 
             
	;;#ASMEND
	;; [unrolled: 5-line block ×16, first 2 shown]
	ds_read_b128 v[16:19], v95 offset:28928
	ds_read_b128 v[34:37], v94 offset:12544
	s_waitcnt lgkmcnt(2)
	;;#ASMSTART
	
             v_fmac_f32 v90, v26, v30 
             
	;;#ASMEND
	;;#ASMSTART
	
             v_fmac_f32 v91, v26, v31 
             
	;;#ASMEND
	;; [unrolled: 5-line block ×16, first 2 shown]
	s_waitcnt lgkmcnt(1)
	;;#ASMSTART
	
             v_fmac_f32 v88, v26, v16 
             
	;;#ASMEND
	;;#ASMSTART
	
             v_fmac_f32 v89, v26, v17 
             
	;;#ASMEND
	;; [unrolled: 5-line block ×16, first 2 shown]
	ds_read_b128 v[26:29], v94 offset:12800
	s_waitcnt lgkmcnt(1)
	;;#ASMSTART
	
             v_fmac_f32 v60, v34, v30 
             
	;;#ASMEND
	;;#ASMSTART
	
             v_fmac_f32 v61, v34, v31 
             
	;;#ASMEND
	;; [unrolled: 5-line block ×16, first 2 shown]
	ds_read_b128 v[30:33], v95 offset:29184
	;;#ASMSTART
	
             v_fmac_f32 v56, v34, v16 
             
	;;#ASMEND
	;;#ASMSTART
	
             v_fmac_f32 v57, v34, v17 
             
	;;#ASMEND
	;; [unrolled: 5-line block ×16, first 2 shown]
	ds_read_b128 v[16:19], v95 offset:29440
	ds_read_b128 v[34:37], v94 offset:13056
	s_waitcnt lgkmcnt(2)
	;;#ASMSTART
	
             v_fmac_f32 v90, v26, v30 
             
	;;#ASMEND
	;;#ASMSTART
	
             v_fmac_f32 v91, v26, v31 
             
	;;#ASMEND
	;; [unrolled: 5-line block ×16, first 2 shown]
	s_waitcnt lgkmcnt(1)
	;;#ASMSTART
	
             v_fmac_f32 v88, v26, v16 
             
	;;#ASMEND
	;;#ASMSTART
	
             v_fmac_f32 v89, v26, v17 
             
	;;#ASMEND
	;; [unrolled: 5-line block ×16, first 2 shown]
	ds_read_b128 v[26:29], v94 offset:13312
	s_waitcnt lgkmcnt(1)
	;;#ASMSTART
	
             v_fmac_f32 v60, v34, v30 
             
	;;#ASMEND
	;;#ASMSTART
	
             v_fmac_f32 v61, v34, v31 
             
	;;#ASMEND
	;; [unrolled: 5-line block ×16, first 2 shown]
	ds_read_b128 v[30:33], v95 offset:29696
	;;#ASMSTART
	
             v_fmac_f32 v56, v34, v16 
             
	;;#ASMEND
	;;#ASMSTART
	
             v_fmac_f32 v57, v34, v17 
             
	;;#ASMEND
	;; [unrolled: 5-line block ×16, first 2 shown]
	ds_read_b128 v[16:19], v95 offset:29952
	ds_read_b128 v[34:37], v94 offset:13568
	s_waitcnt lgkmcnt(2)
	;;#ASMSTART
	
             v_fmac_f32 v90, v26, v30 
             
	;;#ASMEND
	;;#ASMSTART
	
             v_fmac_f32 v91, v26, v31 
             
	;;#ASMEND
	;; [unrolled: 5-line block ×16, first 2 shown]
	s_waitcnt lgkmcnt(1)
	;;#ASMSTART
	
             v_fmac_f32 v88, v26, v16 
             
	;;#ASMEND
	;;#ASMSTART
	
             v_fmac_f32 v89, v26, v17 
             
	;;#ASMEND
	;; [unrolled: 5-line block ×16, first 2 shown]
	ds_read_b128 v[26:29], v94 offset:13824
	s_waitcnt lgkmcnt(1)
	;;#ASMSTART
	
             v_fmac_f32 v60, v34, v30 
             
	;;#ASMEND
	;;#ASMSTART
	
             v_fmac_f32 v61, v34, v31 
             
	;;#ASMEND
	;; [unrolled: 5-line block ×16, first 2 shown]
	ds_read_b128 v[30:33], v95 offset:30208
	;;#ASMSTART
	
             v_fmac_f32 v56, v34, v16 
             
	;;#ASMEND
	;;#ASMSTART
	
             v_fmac_f32 v57, v34, v17 
             
	;;#ASMEND
	;; [unrolled: 5-line block ×16, first 2 shown]
	ds_read_b128 v[16:19], v95 offset:30464
	ds_read_b128 v[34:37], v94 offset:14080
	s_waitcnt lgkmcnt(2)
	;;#ASMSTART
	
             v_fmac_f32 v90, v26, v30 
             
	;;#ASMEND
	;;#ASMSTART
	
             v_fmac_f32 v91, v26, v31 
             
	;;#ASMEND
	;; [unrolled: 5-line block ×16, first 2 shown]
	s_waitcnt lgkmcnt(1)
	;;#ASMSTART
	
             v_fmac_f32 v88, v26, v16 
             
	;;#ASMEND
	;;#ASMSTART
	
             v_fmac_f32 v89, v26, v17 
             
	;;#ASMEND
	;; [unrolled: 5-line block ×16, first 2 shown]
	ds_read_b128 v[26:29], v94 offset:14336
	s_waitcnt lgkmcnt(1)
	;;#ASMSTART
	
             v_fmac_f32 v60, v34, v30 
             
	;;#ASMEND
	;;#ASMSTART
	
             v_fmac_f32 v61, v34, v31 
             
	;;#ASMEND
	;; [unrolled: 5-line block ×16, first 2 shown]
	ds_read_b128 v[30:33], v95 offset:30720
	;;#ASMSTART
	
             v_fmac_f32 v56, v34, v16 
             
	;;#ASMEND
	;;#ASMSTART
	
             v_fmac_f32 v57, v34, v17 
             
	;;#ASMEND
	;; [unrolled: 5-line block ×16, first 2 shown]
	ds_read_b128 v[16:19], v95 offset:30976
	ds_read_b128 v[34:37], v94 offset:14592
	s_waitcnt lgkmcnt(2)
	;;#ASMSTART
	
             v_fmac_f32 v90, v26, v30 
             
	;;#ASMEND
	;;#ASMSTART
	
             v_fmac_f32 v91, v26, v31 
             
	;;#ASMEND
	;; [unrolled: 5-line block ×16, first 2 shown]
	s_waitcnt lgkmcnt(1)
	;;#ASMSTART
	
             v_fmac_f32 v88, v26, v16 
             
	;;#ASMEND
	;;#ASMSTART
	
             v_fmac_f32 v89, v26, v17 
             
	;;#ASMEND
	;; [unrolled: 5-line block ×16, first 2 shown]
	ds_read_b128 v[26:29], v94 offset:14848
	s_waitcnt lgkmcnt(1)
	;;#ASMSTART
	
             v_fmac_f32 v60, v34, v30 
             
	;;#ASMEND
	;;#ASMSTART
	
             v_fmac_f32 v61, v34, v31 
             
	;;#ASMEND
	;; [unrolled: 5-line block ×16, first 2 shown]
	ds_read_b128 v[30:33], v95 offset:31232
	;;#ASMSTART
	
             v_fmac_f32 v56, v34, v16 
             
	;;#ASMEND
	;;#ASMSTART
	
             v_fmac_f32 v57, v34, v17 
             
	;;#ASMEND
	;; [unrolled: 5-line block ×16, first 2 shown]
	ds_read_b128 v[16:19], v95 offset:31488
	ds_read_b128 v[34:37], v94 offset:15104
	s_waitcnt lgkmcnt(2)
	;;#ASMSTART
	
             v_fmac_f32 v90, v26, v30 
             
	;;#ASMEND
	;;#ASMSTART
	
             v_fmac_f32 v91, v26, v31 
             
	;;#ASMEND
	;; [unrolled: 5-line block ×16, first 2 shown]
	s_waitcnt lgkmcnt(1)
	;;#ASMSTART
	
             v_fmac_f32 v88, v26, v16 
             
	;;#ASMEND
	;;#ASMSTART
	
             v_fmac_f32 v89, v26, v17 
             
	;;#ASMEND
	;; [unrolled: 5-line block ×16, first 2 shown]
	ds_read_b128 v[26:29], v94 offset:15360
	s_waitcnt lgkmcnt(1)
	;;#ASMSTART
	
             v_fmac_f32 v60, v34, v30 
             
	;;#ASMEND
	;;#ASMSTART
	
             v_fmac_f32 v61, v34, v31 
             
	;;#ASMEND
	;; [unrolled: 5-line block ×16, first 2 shown]
	ds_read_b128 v[30:33], v95 offset:31744
	;;#ASMSTART
	
             v_fmac_f32 v56, v34, v16 
             
	;;#ASMEND
	;;#ASMSTART
	
             v_fmac_f32 v57, v34, v17 
             
	;;#ASMEND
	;; [unrolled: 5-line block ×16, first 2 shown]
	ds_read_b128 v[16:19], v95 offset:32000
	ds_read_b128 v[48:51], v94 offset:15616
	s_waitcnt lgkmcnt(2)
	;;#ASMSTART
	
             v_fmac_f32 v90, v26, v30 
             
	;;#ASMEND
	;;#ASMSTART
	
             v_fmac_f32 v91, v26, v31 
             
	;;#ASMEND
	;; [unrolled: 5-line block ×16, first 2 shown]
	s_waitcnt lgkmcnt(1)
	;;#ASMSTART
	
             v_fmac_f32 v88, v26, v16 
             
	;;#ASMEND
	;;#ASMSTART
	
             v_fmac_f32 v89, v26, v17 
             
	;;#ASMEND
	;; [unrolled: 5-line block ×16, first 2 shown]
	ds_read_b128 v[34:37], v94 offset:15872
	s_waitcnt lgkmcnt(1)
	;;#ASMSTART
	
             v_fmac_f32 v60, v48, v30 
             
	;;#ASMEND
	;;#ASMSTART
	
             v_fmac_f32 v61, v48, v31 
             
	;;#ASMEND
	;; [unrolled: 5-line block ×16, first 2 shown]
	ds_read_b128 v[30:33], v95 offset:32256
	;;#ASMSTART
	
             v_fmac_f32 v56, v48, v16 
             
	;;#ASMEND
	;;#ASMSTART
	
             v_fmac_f32 v57, v48, v17 
             
	;;#ASMEND
	;; [unrolled: 5-line block ×16, first 2 shown]
	ds_read_b128 v[16:19], v95 offset:32512
	ds_read_b128 v[26:29], v94 offset:16128
	s_waitcnt lgkmcnt(2)
	;;#ASMSTART
	
             v_fmac_f32 v90, v34, v30 
             
	;;#ASMEND
	;;#ASMSTART
	
             v_fmac_f32 v91, v34, v31 
             
	;;#ASMEND
	;; [unrolled: 5-line block ×16, first 2 shown]
	s_waitcnt lgkmcnt(1)
	;;#ASMSTART
	
             v_fmac_f32 v88, v34, v16 
             
	;;#ASMEND
	;;#ASMSTART
	
             v_fmac_f32 v89, v34, v17 
             
	;;#ASMEND
	;; [unrolled: 5-line block ×16, first 2 shown]
	s_waitcnt lgkmcnt(0)
	;;#ASMSTART
	
             v_fmac_f32 v60, v26, v30 
             
	;;#ASMEND
	;;#ASMSTART
	
             v_fmac_f32 v61, v26, v31 
             
	;;#ASMEND
	;; [unrolled: 5-line block ×29, first 2 shown]
	v_accvgpr_read_b32 v16, a7
	;;#ASMSTART
	
             v_fmac_f32 v119, v29, v17 
             
	;;#ASMEND
	;;#ASMSTART
	
             v_fmac_f32 v40, v29, v18 
             
	;;#ASMEND
	;;#ASMSTART
	
             v_fmac_f32 v41, v29, v19 
             
	;;#ASMEND
	ds_write2st64_b32 v16, v111, v109 offset1:2
	ds_write2st64_b32 v16, v108, v107 offset0:4 offset1:6
	ds_write2st64_b32 v16, v123, v122 offset0:8 offset1:10
	;; [unrolled: 1-line block ×3, first 2 shown]
	ds_write_b32 v16, v127 offset:16384
	s_add_i32 s26, s26, 32
	v_accvgpr_read_b32 v16, a12
	v_cmp_ge_i32_e32 vcc, s26, v16
	v_accvgpr_read_b32 v17, a13
	s_or_b64 s[20:21], vcc, s[20:21]
	ds_write2st64_b32 v17, v126, v125 offset0:2 offset1:4
	ds_write2st64_b32 v17, v124, v104 offset0:6 offset1:8
	;; [unrolled: 1-line block ×3, first 2 shown]
	ds_write_b32 v17, v105 offset:3584
	s_andn2_b64 exec, exec, s[20:21]
	s_cbranch_execnz .LBB7_9
; %bb.26:
	s_or_b64 exec, exec, s[20:21]
	flat_load_dwordx2 v[36:37], v[8:9] offset:160
	flat_load_dword v29, v[8:9] offset:216
	flat_load_dwordx2 v[48:49], v[8:9] offset:172
	flat_load_dwordx2 v[50:51], v[8:9] offset:148
	flat_load_dword v104, v[8:9] offset:92
	flat_load_dword v105, v[8:9] offset:76
	flat_load_dwordx3 v[26:28], v[8:9] offset:20
	flat_load_dword v33, v[10:11] offset:48
	s_waitcnt lgkmcnt(0)
	s_barrier
	flat_load_dword v34, v[8:9] offset:188
	flat_load_dwordx4 v[16:19], v[8:9] offset:36
	flat_load_dwordx2 v[30:31], v[8:9] offset:52
	flat_load_dword v32, v[8:9] offset:200
	s_waitcnt vmcnt(0)
	v_mul_lo_u32 v29, v29, 12
	v_add_u32_e32 v15, v29, v15
	v_mul_lo_u32 v35, v33, 12
	v_accvgpr_read_b32 v33, a11
	s_waitcnt lgkmcnt(0)
	v_sub_u32_e32 v19, v19, v31
	v_sub_u32_e32 v31, v16, v18
	v_mul_hi_u32 v16, v15, v37
	v_add_u32_e32 v16, v15, v16
	v_lshrrev_b32_e32 v18, v49, v16
	v_cmp_lt_i32_e32 vcc, v33, v34
	v_add_u32_e32 v33, v29, v93
	v_mul_lo_u32 v16, v18, v51
	v_mul_hi_u32 v29, v18, v36
	v_sub_u32_e32 v16, v15, v16
	v_add_u32_e32 v29, v18, v29
	v_sub_u32_e32 v36, v16, v1
	v_lshrrev_b32_e32 v1, v48, v29
	v_mul_lo_u32 v37, v1, v50
	v_sub_u32_e32 v12, v1, v12
	v_mad_u64_u32 v[28:29], s[6:7], v28, v36, v[92:93]
	v_sub_u32_e32 v18, v18, v37
	v_mul_lo_u32 v12, v12, v105
	v_sub_u32_e32 v29, v18, v0
	v_add_u32_e32 v0, v12, v14
	v_mul_lo_u32 v14, v12, v26
	v_mul_lo_u32 v26, v29, v104
	v_cmp_le_i32_e64 s[6:7], v17, v0
	v_cmp_gt_i32_e64 s[8:9], v31, v0
	v_add_u32_e32 v12, v26, v13
	s_and_b64 s[10:11], s[6:7], s[8:9]
	v_cmp_le_i32_e64 s[6:7], v30, v12
	v_cmp_gt_i32_e64 s[8:9], v19, v12
	v_cmp_lt_i32_e64 s[4:5], v33, v32
	s_and_b64 s[6:7], s[6:7], s[8:9]
	v_mul_lo_u32 v13, v26, v27
	s_and_b64 s[4:5], s[4:5], s[6:7]
	v_add3_u32 v13, v28, v14, v13
	s_and_b64 s[4:5], s[4:5], s[10:11]
	v_add_u32_e32 v34, v35, v116
	v_add_u32_e32 v35, v35, v117
	v_lshlrev_b32_e32 v14, 2, v13
	s_and_b64 s[4:5], vcc, s[4:5]
	s_mov_b64 s[10:11], exec
.LBB7_27:                               ; =>This Inner Loop Header: Depth=1
	v_readfirstlane_b32 s12, v22
	v_readfirstlane_b32 s13, v23
	v_readfirstlane_b32 s14, v24
	v_readfirstlane_b32 s15, v25
	v_cmp_eq_u64_e64 s[6:7], s[12:13], v[22:23]
	v_cmp_eq_u64_e64 s[8:9], s[14:15], v[24:25]
	s_and_b64 s[6:7], s[6:7], s[8:9]
	s_and_saveexec_b64 s[6:7], s[6:7]
	s_nop 0
	buffer_load_dwordx4 v[26:29], v14, s[12:15], 0 offen
                                        ; implicit-def: $vgpr14
	s_xor_b64 exec, exec, s[6:7]
	s_cbranch_execnz .LBB7_27
; %bb.28:
	s_mov_b64 exec, s[10:11]
	flat_load_dword v14, v[8:9] offset:216
	flat_load_dwordx2 v[36:37], v[8:9] offset:160
	flat_load_dwordx2 v[116:117], v[8:9] offset:172
	;; [unrolled: 1-line block ×3, first 2 shown]
	flat_load_dwordx3 v[48:50], v[8:9] offset:20
	flat_load_dword v51, v[8:9] offset:76
	flat_load_dword v104, v[8:9] offset:92
	s_waitcnt vmcnt(0)
	v_cndmask_b32_e64 v29, 0, v29, s[4:5]
	v_cndmask_b32_e64 v28, 0, v28, s[4:5]
	;; [unrolled: 1-line block ×4, first 2 shown]
	s_waitcnt lgkmcnt(0)
	v_lshlrev_b32_e32 v8, 2, v14
	v_add_u32_e32 v14, v8, v15
	v_add_u32_e32 v9, v8, v33
	v_mul_hi_u32 v8, v14, v37
	v_add_u32_e32 v8, v14, v8
	v_lshrrev_b32_e32 v15, v117, v8
	v_cmp_lt_i32_e64 s[4:5], v9, v32
	v_mad_u64_u32 v[8:9], s[6:7], v15, v93, v[16:17]
	v_mul_hi_u32 v9, v15, v36
	v_add_u32_e32 v9, v15, v9
	v_sub_u32_e32 v8, v14, v8
	v_lshrrev_b32_e32 v14, v116, v9
	v_mul_lo_u32 v16, v50, v8
	v_mad_u64_u32 v[8:9], s[6:7], v14, v92, v[18:19]
	v_sub_u32_e32 v1, v14, v1
	v_sub_u32_e32 v8, v15, v8
	v_mul_lo_u32 v1, v1, v51
	v_mul_lo_u32 v8, v8, v104
	v_add_u32_e32 v0, v1, v0
	v_add_u32_e32 v9, v8, v12
	v_cmp_le_i32_e64 s[6:7], v17, v0
	v_cmp_gt_i32_e64 s[8:9], v31, v0
	v_cmp_le_i32_e64 s[10:11], v30, v9
	v_cmp_gt_i32_e64 s[12:13], v19, v9
	s_and_b64 s[6:7], s[6:7], s[8:9]
	s_and_b64 s[8:9], s[10:11], s[12:13]
	v_mul_lo_u32 v1, v1, v48
	s_and_b64 s[4:5], s[4:5], s[8:9]
	v_mul_lo_u32 v8, v8, v49
	v_add3_u32 v1, v16, v13, v1
	s_and_b64 s[4:5], s[6:7], s[4:5]
	v_add_lshl_u32 v0, v1, v8, 2
	s_and_b64 vcc, vcc, s[4:5]
	s_mov_b64 s[12:13], exec
.LBB7_29:                               ; =>This Inner Loop Header: Depth=1
	v_readfirstlane_b32 s8, v22
	v_readfirstlane_b32 s9, v23
	;; [unrolled: 1-line block ×4, first 2 shown]
	v_cmp_eq_u64_e64 s[4:5], s[8:9], v[22:23]
	v_cmp_eq_u64_e64 s[6:7], s[10:11], v[24:25]
	s_and_b64 s[4:5], s[4:5], s[6:7]
	s_and_saveexec_b64 s[4:5], s[4:5]
	s_nop 0
	buffer_load_dwordx4 v[16:19], v0, s[8:11], 0 offen
                                        ; implicit-def: $vgpr22_vgpr23_vgpr24_vgpr25
                                        ; implicit-def: $vgpr0
	s_xor_b64 exec, exec, s[4:5]
	s_cbranch_execnz .LBB7_29
; %bb.30:
	s_mov_b64 exec, s[12:13]
	flat_load_dword v0, v[10:11] offset:32
	flat_load_dword v8, v[10:11] offset:20
	v_accvgpr_read_b32 v9, a10
	s_waitcnt vmcnt(0)
	v_cndmask_b32_e32 v12, 0, v19, vcc
	v_cndmask_b32_e32 v13, 0, v18, vcc
	;; [unrolled: 1-line block ×4, first 2 shown]
	v_lshlrev_b32_e32 v1, 2, v35
	s_mov_b64 s[10:11], exec
	s_waitcnt lgkmcnt(0)
	v_cmp_gt_i32_e64 s[4:5], v0, v34
	v_cmp_gt_i32_e32 vcc, v8, v9
	s_and_b64 s[4:5], vcc, s[4:5]
.LBB7_31:                               ; =>This Inner Loop Header: Depth=1
	v_readfirstlane_b32 s12, v2
	v_readfirstlane_b32 s13, v3
	;; [unrolled: 1-line block ×4, first 2 shown]
	v_cmp_eq_u64_e64 s[6:7], s[12:13], v[2:3]
	v_cmp_eq_u64_e64 s[8:9], s[14:15], v[4:5]
	s_and_b64 s[6:7], s[6:7], s[8:9]
	s_and_saveexec_b64 s[6:7], s[6:7]
	s_nop 0
	buffer_load_dwordx4 v[16:19], v1, s[12:15], 0 offen
                                        ; implicit-def: $vgpr1
	s_xor_b64 exec, exec, s[6:7]
	s_cbranch_execnz .LBB7_31
; %bb.32:
	s_mov_b64 exec, s[10:11]
	flat_load_dword v1, v[10:11] offset:48
	s_waitcnt vmcnt(0)
	v_cndmask_b32_e64 v14, 0, v19, s[4:5]
	v_cndmask_b32_e64 v31, 0, v18, s[4:5]
	;; [unrolled: 1-line block ×4, first 2 shown]
	s_mov_b64 s[12:13], exec
	s_waitcnt lgkmcnt(0)
	v_lshlrev_b32_e32 v1, 2, v1
	v_add_u32_e32 v8, v1, v34
	v_cmp_gt_i32_e64 s[4:5], v0, v8
	v_add_lshl_u32 v1, v1, v35, 2
	s_and_b64 vcc, vcc, s[4:5]
.LBB7_33:                               ; =>This Inner Loop Header: Depth=1
	v_readfirstlane_b32 s8, v2
	v_readfirstlane_b32 s9, v3
	;; [unrolled: 1-line block ×4, first 2 shown]
	v_cmp_eq_u64_e64 s[4:5], s[8:9], v[2:3]
	v_cmp_eq_u64_e64 s[6:7], s[10:11], v[4:5]
	s_and_b64 s[4:5], s[4:5], s[6:7]
	s_and_saveexec_b64 s[4:5], s[4:5]
	s_nop 0
	buffer_load_dwordx4 v[22:25], v1, s[8:11], 0 offen
                                        ; implicit-def: $vgpr2_vgpr3_vgpr4_vgpr5
                                        ; implicit-def: $vgpr1
	s_xor_b64 exec, exec, s[4:5]
	s_cbranch_execnz .LBB7_33
; %bb.34:
	s_mov_b64 exec, s[12:13]
	s_waitcnt vmcnt(0)
	v_cndmask_b32_e32 v4, 0, v25, vcc
	v_cndmask_b32_e32 v5, 0, v24, vcc
	ds_read_b128 v[8:11], v94
	ds_read_b128 v[16:19], v95 offset:16384
	v_cndmask_b32_e32 v34, 0, v23, vcc
	v_cndmask_b32_e32 v35, 0, v22, vcc
	ds_read_b128 v[0:3], v95 offset:16640
	ds_read_b128 v[22:25], v94 offset:256
	s_waitcnt lgkmcnt(2)
	;;#ASMSTART
	
             v_fmac_f32 v90, v8, v16 
             
	;;#ASMEND
	;;#ASMSTART
	
             v_fmac_f32 v91, v8, v17 
             
	;;#ASMEND
	;; [unrolled: 5-line block ×16, first 2 shown]
	s_waitcnt lgkmcnt(1)
	;;#ASMSTART
	
             v_fmac_f32 v88, v8, v0 
             
	;;#ASMEND
	;;#ASMSTART
	
             v_fmac_f32 v89, v8, v1 
             
	;;#ASMEND
	;; [unrolled: 5-line block ×16, first 2 shown]
	ds_read_b128 v[8:11], v94 offset:512
	s_waitcnt lgkmcnt(1)
	;;#ASMSTART
	
             v_fmac_f32 v60, v22, v16 
             
	;;#ASMEND
	;;#ASMSTART
	
             v_fmac_f32 v61, v22, v17 
             
	;;#ASMEND
	;; [unrolled: 5-line block ×16, first 2 shown]
	ds_read_b128 v[16:19], v95 offset:16896
	;;#ASMSTART
	
             v_fmac_f32 v56, v22, v0 
             
	;;#ASMEND
	;;#ASMSTART
	
             v_fmac_f32 v57, v22, v1 
             
	;;#ASMEND
	;; [unrolled: 5-line block ×16, first 2 shown]
	ds_read_b128 v[0:3], v95 offset:17152
	ds_read_b128 v[22:25], v94 offset:768
	s_waitcnt lgkmcnt(2)
	;;#ASMSTART
	
             v_fmac_f32 v90, v8, v16 
             
	;;#ASMEND
	;;#ASMSTART
	
             v_fmac_f32 v91, v8, v17 
             
	;;#ASMEND
	;;#ASMSTART
	
             v_fmac_f32 v38, v8, v18 
             
	;;#ASMEND
	;;#ASMSTART
	
             v_fmac_f32 v39, v8, v19 
             
	;;#ASMEND
	;;#ASMSTART
	
             v_fmac_f32 v76, v9, v16 
             
	;;#ASMEND
	;;#ASMSTART
	
             v_fmac_f32 v77, v9, v17 
             
	;;#ASMEND
	;;#ASMSTART
	
             v_fmac_f32 v74, v9, v18 
             
	;;#ASMEND
	;;#ASMSTART
	
             v_fmac_f32 v75, v9, v19 
             
	;;#ASMEND
	;;#ASMSTART
	
             v_fmac_f32 v54, v10, v16 
             
	;;#ASMEND
	;;#ASMSTART
	
             v_fmac_f32 v55, v10, v17 
             
	;;#ASMEND
	;;#ASMSTART
	
             v_fmac_f32 v52, v10, v18 
             
	;;#ASMEND
	;;#ASMSTART
	
             v_fmac_f32 v53, v10, v19 
             
	;;#ASMEND
	;;#ASMSTART
	
             v_fmac_f32 v72, v11, v16 
             
	;;#ASMEND
	;;#ASMSTART
	
             v_fmac_f32 v73, v11, v17 
             
	;;#ASMEND
	;;#ASMSTART
	
             v_fmac_f32 v62, v11, v18 
             
	;;#ASMEND
	;;#ASMSTART
	
             v_fmac_f32 v63, v11, v19 
             
	;;#ASMEND
	s_waitcnt lgkmcnt(1)
	;;#ASMSTART
	
             v_fmac_f32 v88, v8, v0 
             
	;;#ASMEND
	;;#ASMSTART
	
             v_fmac_f32 v89, v8, v1 
             
	;;#ASMEND
	;; [unrolled: 5-line block ×16, first 2 shown]
	ds_read_b128 v[8:11], v94 offset:1024
	s_waitcnt lgkmcnt(1)
	;;#ASMSTART
	
             v_fmac_f32 v60, v22, v16 
             
	;;#ASMEND
	;;#ASMSTART
	
             v_fmac_f32 v61, v22, v17 
             
	;;#ASMEND
	;; [unrolled: 5-line block ×16, first 2 shown]
	ds_read_b128 v[16:19], v95 offset:17408
	;;#ASMSTART
	
             v_fmac_f32 v56, v22, v0 
             
	;;#ASMEND
	;;#ASMSTART
	
             v_fmac_f32 v57, v22, v1 
             
	;;#ASMEND
	;; [unrolled: 5-line block ×16, first 2 shown]
	ds_read_b128 v[0:3], v95 offset:17664
	ds_read_b128 v[22:25], v94 offset:1280
	s_waitcnt lgkmcnt(2)
	;;#ASMSTART
	
             v_fmac_f32 v90, v8, v16 
             
	;;#ASMEND
	;;#ASMSTART
	
             v_fmac_f32 v91, v8, v17 
             
	;;#ASMEND
	;; [unrolled: 5-line block ×16, first 2 shown]
	s_waitcnt lgkmcnt(1)
	;;#ASMSTART
	
             v_fmac_f32 v88, v8, v0 
             
	;;#ASMEND
	;;#ASMSTART
	
             v_fmac_f32 v89, v8, v1 
             
	;;#ASMEND
	;; [unrolled: 5-line block ×16, first 2 shown]
	ds_read_b128 v[8:11], v94 offset:1536
	s_waitcnt lgkmcnt(1)
	;;#ASMSTART
	
             v_fmac_f32 v60, v22, v16 
             
	;;#ASMEND
	;;#ASMSTART
	
             v_fmac_f32 v61, v22, v17 
             
	;;#ASMEND
	;; [unrolled: 5-line block ×16, first 2 shown]
	ds_read_b128 v[16:19], v95 offset:17920
	;;#ASMSTART
	
             v_fmac_f32 v56, v22, v0 
             
	;;#ASMEND
	;;#ASMSTART
	
             v_fmac_f32 v57, v22, v1 
             
	;;#ASMEND
	;; [unrolled: 5-line block ×16, first 2 shown]
	ds_read_b128 v[0:3], v95 offset:18176
	ds_read_b128 v[22:25], v94 offset:1792
	s_waitcnt lgkmcnt(2)
	;;#ASMSTART
	
             v_fmac_f32 v90, v8, v16 
             
	;;#ASMEND
	;;#ASMSTART
	
             v_fmac_f32 v91, v8, v17 
             
	;;#ASMEND
	;; [unrolled: 5-line block ×16, first 2 shown]
	s_waitcnt lgkmcnt(1)
	;;#ASMSTART
	
             v_fmac_f32 v88, v8, v0 
             
	;;#ASMEND
	;;#ASMSTART
	
             v_fmac_f32 v89, v8, v1 
             
	;;#ASMEND
	;; [unrolled: 5-line block ×16, first 2 shown]
	ds_read_b128 v[8:11], v94 offset:2048
	s_waitcnt lgkmcnt(1)
	;;#ASMSTART
	
             v_fmac_f32 v60, v22, v16 
             
	;;#ASMEND
	;;#ASMSTART
	
             v_fmac_f32 v61, v22, v17 
             
	;;#ASMEND
	;; [unrolled: 5-line block ×16, first 2 shown]
	ds_read_b128 v[16:19], v95 offset:18432
	;;#ASMSTART
	
             v_fmac_f32 v56, v22, v0 
             
	;;#ASMEND
	;;#ASMSTART
	
             v_fmac_f32 v57, v22, v1 
             
	;;#ASMEND
	;; [unrolled: 5-line block ×16, first 2 shown]
	ds_read_b128 v[0:3], v95 offset:18688
	ds_read_b128 v[22:25], v94 offset:2304
	s_waitcnt lgkmcnt(2)
	;;#ASMSTART
	
             v_fmac_f32 v90, v8, v16 
             
	;;#ASMEND
	;;#ASMSTART
	
             v_fmac_f32 v91, v8, v17 
             
	;;#ASMEND
	;; [unrolled: 5-line block ×16, first 2 shown]
	s_waitcnt lgkmcnt(1)
	;;#ASMSTART
	
             v_fmac_f32 v88, v8, v0 
             
	;;#ASMEND
	;;#ASMSTART
	
             v_fmac_f32 v89, v8, v1 
             
	;;#ASMEND
	;; [unrolled: 5-line block ×16, first 2 shown]
	ds_read_b128 v[8:11], v94 offset:2560
	s_waitcnt lgkmcnt(1)
	;;#ASMSTART
	
             v_fmac_f32 v60, v22, v16 
             
	;;#ASMEND
	;;#ASMSTART
	
             v_fmac_f32 v61, v22, v17 
             
	;;#ASMEND
	;; [unrolled: 5-line block ×16, first 2 shown]
	ds_read_b128 v[16:19], v95 offset:18944
	;;#ASMSTART
	
             v_fmac_f32 v56, v22, v0 
             
	;;#ASMEND
	;;#ASMSTART
	
             v_fmac_f32 v57, v22, v1 
             
	;;#ASMEND
	;; [unrolled: 5-line block ×16, first 2 shown]
	ds_read_b128 v[0:3], v95 offset:19200
	ds_read_b128 v[22:25], v94 offset:2816
	s_waitcnt lgkmcnt(2)
	;;#ASMSTART
	
             v_fmac_f32 v90, v8, v16 
             
	;;#ASMEND
	;;#ASMSTART
	
             v_fmac_f32 v91, v8, v17 
             
	;;#ASMEND
	;; [unrolled: 5-line block ×16, first 2 shown]
	s_waitcnt lgkmcnt(1)
	;;#ASMSTART
	
             v_fmac_f32 v88, v8, v0 
             
	;;#ASMEND
	;;#ASMSTART
	
             v_fmac_f32 v89, v8, v1 
             
	;;#ASMEND
	;; [unrolled: 5-line block ×16, first 2 shown]
	ds_read_b128 v[8:11], v94 offset:3072
	s_waitcnt lgkmcnt(1)
	;;#ASMSTART
	
             v_fmac_f32 v60, v22, v16 
             
	;;#ASMEND
	;;#ASMSTART
	
             v_fmac_f32 v61, v22, v17 
             
	;;#ASMEND
	;;#ASMSTART
	
             v_fmac_f32 v58, v22, v18 
             
	;;#ASMEND
	;;#ASMSTART
	
             v_fmac_f32 v59, v22, v19 
             
	;;#ASMEND
	;;#ASMSTART
	
             v_fmac_f32 v44, v23, v16 
             
	;;#ASMEND
	;;#ASMSTART
	
             v_fmac_f32 v45, v23, v17 
             
	;;#ASMEND
	;;#ASMSTART
	
             v_fmac_f32 v42, v23, v18 
             
	;;#ASMEND
	;;#ASMSTART
	
             v_fmac_f32 v43, v23, v19 
             
	;;#ASMEND
	;;#ASMSTART
	
             v_fmac_f32 v98, v24, v16 
             
	;;#ASMEND
	;;#ASMSTART
	
             v_fmac_f32 v99, v24, v17 
             
	;;#ASMEND
	;;#ASMSTART
	
             v_fmac_f32 v96, v24, v18 
             
	;;#ASMEND
	;;#ASMSTART
	
             v_fmac_f32 v97, v24, v19 
             
	;;#ASMEND
	;;#ASMSTART
	
             v_fmac_f32 v114, v25, v16 
             
	;;#ASMEND
	;;#ASMSTART
	
             v_fmac_f32 v115, v25, v17 
             
	;;#ASMEND
	;;#ASMSTART
	
             v_fmac_f32 v112, v25, v18 
             
	;;#ASMEND
	;;#ASMSTART
	
             v_fmac_f32 v113, v25, v19 
             
	;;#ASMEND
	ds_read_b128 v[16:19], v95 offset:19456
	;;#ASMSTART
	
             v_fmac_f32 v56, v22, v0 
             
	;;#ASMEND
	;;#ASMSTART
	
             v_fmac_f32 v57, v22, v1 
             
	;;#ASMEND
	;;#ASMSTART
	
             v_fmac_f32 v46, v22, v2 
             
	;;#ASMEND
	;;#ASMSTART
	
             v_fmac_f32 v47, v22, v3 
             
	;;#ASMEND
	;;#ASMSTART
	
             v_fmac_f32 v86, v23, v0 
             
	;;#ASMEND
	;;#ASMSTART
	
             v_fmac_f32 v87, v23, v1 
             
	;;#ASMEND
	;;#ASMSTART
	
             v_fmac_f32 v84, v23, v2 
             
	;;#ASMEND
	;;#ASMSTART
	
             v_fmac_f32 v85, v23, v3 
             
	;;#ASMEND
	;;#ASMSTART
	
             v_fmac_f32 v102, v24, v0 
             
	;;#ASMEND
	;;#ASMSTART
	
             v_fmac_f32 v103, v24, v1 
             
	;;#ASMEND
	;;#ASMSTART
	
             v_fmac_f32 v100, v24, v2 
             
	;;#ASMEND
	;;#ASMSTART
	
             v_fmac_f32 v101, v24, v3 
             
	;;#ASMEND
	;;#ASMSTART
	
             v_fmac_f32 v118, v25, v0 
             
	;;#ASMEND
	;;#ASMSTART
	
             v_fmac_f32 v119, v25, v1 
             
	;;#ASMEND
	;;#ASMSTART
	
             v_fmac_f32 v40, v25, v2 
             
	;;#ASMEND
	;;#ASMSTART
	
             v_fmac_f32 v41, v25, v3 
             
	;;#ASMEND
	ds_read_b128 v[0:3], v95 offset:19712
	ds_read_b128 v[22:25], v94 offset:3328
	s_waitcnt lgkmcnt(2)
	;;#ASMSTART
	
             v_fmac_f32 v90, v8, v16 
             
	;;#ASMEND
	;;#ASMSTART
	
             v_fmac_f32 v91, v8, v17 
             
	;;#ASMEND
	;;#ASMSTART
	
             v_fmac_f32 v38, v8, v18 
             
	;;#ASMEND
	;;#ASMSTART
	
             v_fmac_f32 v39, v8, v19 
             
	;;#ASMEND
	;;#ASMSTART
	
             v_fmac_f32 v76, v9, v16 
             
	;;#ASMEND
	;;#ASMSTART
	
             v_fmac_f32 v77, v9, v17 
             
	;;#ASMEND
	;;#ASMSTART
	
             v_fmac_f32 v74, v9, v18 
             
	;;#ASMEND
	;;#ASMSTART
	
             v_fmac_f32 v75, v9, v19 
             
	;;#ASMEND
	;;#ASMSTART
	
             v_fmac_f32 v54, v10, v16 
             
	;;#ASMEND
	;;#ASMSTART
	
             v_fmac_f32 v55, v10, v17 
             
	;;#ASMEND
	;;#ASMSTART
	
             v_fmac_f32 v52, v10, v18 
             
	;;#ASMEND
	;;#ASMSTART
	
             v_fmac_f32 v53, v10, v19 
             
	;;#ASMEND
	;;#ASMSTART
	
             v_fmac_f32 v72, v11, v16 
             
	;;#ASMEND
	;;#ASMSTART
	
             v_fmac_f32 v73, v11, v17 
             
	;;#ASMEND
	;;#ASMSTART
	
             v_fmac_f32 v62, v11, v18 
             
	;;#ASMEND
	;;#ASMSTART
	
             v_fmac_f32 v63, v11, v19 
             
	;;#ASMEND
	s_waitcnt lgkmcnt(1)
	;;#ASMSTART
	
             v_fmac_f32 v88, v8, v0 
             
	;;#ASMEND
	;;#ASMSTART
	
             v_fmac_f32 v89, v8, v1 
             
	;;#ASMEND
	;; [unrolled: 5-line block ×16, first 2 shown]
	ds_read_b128 v[8:11], v94 offset:3584
	s_waitcnt lgkmcnt(1)
	;;#ASMSTART
	
             v_fmac_f32 v60, v22, v16 
             
	;;#ASMEND
	;;#ASMSTART
	
             v_fmac_f32 v61, v22, v17 
             
	;;#ASMEND
	;; [unrolled: 5-line block ×16, first 2 shown]
	ds_read_b128 v[16:19], v95 offset:19968
	;;#ASMSTART
	
             v_fmac_f32 v56, v22, v0 
             
	;;#ASMEND
	;;#ASMSTART
	
             v_fmac_f32 v57, v22, v1 
             
	;;#ASMEND
	;; [unrolled: 5-line block ×16, first 2 shown]
	ds_read_b128 v[0:3], v95 offset:20224
	ds_read_b128 v[22:25], v94 offset:3840
	s_waitcnt lgkmcnt(2)
	;;#ASMSTART
	
             v_fmac_f32 v90, v8, v16 
             
	;;#ASMEND
	;;#ASMSTART
	
             v_fmac_f32 v91, v8, v17 
             
	;;#ASMEND
	;; [unrolled: 5-line block ×16, first 2 shown]
	s_waitcnt lgkmcnt(1)
	;;#ASMSTART
	
             v_fmac_f32 v88, v8, v0 
             
	;;#ASMEND
	;;#ASMSTART
	
             v_fmac_f32 v89, v8, v1 
             
	;;#ASMEND
	;; [unrolled: 5-line block ×16, first 2 shown]
	ds_read_b128 v[8:11], v94 offset:4096
	s_waitcnt lgkmcnt(1)
	;;#ASMSTART
	
             v_fmac_f32 v60, v22, v16 
             
	;;#ASMEND
	;;#ASMSTART
	
             v_fmac_f32 v61, v22, v17 
             
	;;#ASMEND
	;; [unrolled: 5-line block ×16, first 2 shown]
	ds_read_b128 v[16:19], v95 offset:20480
	;;#ASMSTART
	
             v_fmac_f32 v56, v22, v0 
             
	;;#ASMEND
	;;#ASMSTART
	
             v_fmac_f32 v57, v22, v1 
             
	;;#ASMEND
	;; [unrolled: 5-line block ×16, first 2 shown]
	ds_read_b128 v[0:3], v95 offset:20736
	ds_read_b128 v[22:25], v94 offset:4352
	s_waitcnt lgkmcnt(2)
	;;#ASMSTART
	
             v_fmac_f32 v90, v8, v16 
             
	;;#ASMEND
	;;#ASMSTART
	
             v_fmac_f32 v91, v8, v17 
             
	;;#ASMEND
	;; [unrolled: 5-line block ×16, first 2 shown]
	s_waitcnt lgkmcnt(1)
	;;#ASMSTART
	
             v_fmac_f32 v88, v8, v0 
             
	;;#ASMEND
	;;#ASMSTART
	
             v_fmac_f32 v89, v8, v1 
             
	;;#ASMEND
	;; [unrolled: 5-line block ×16, first 2 shown]
	ds_read_b128 v[8:11], v94 offset:4608
	s_waitcnt lgkmcnt(1)
	;;#ASMSTART
	
             v_fmac_f32 v60, v22, v16 
             
	;;#ASMEND
	;;#ASMSTART
	
             v_fmac_f32 v61, v22, v17 
             
	;;#ASMEND
	;; [unrolled: 5-line block ×16, first 2 shown]
	ds_read_b128 v[16:19], v95 offset:20992
	;;#ASMSTART
	
             v_fmac_f32 v56, v22, v0 
             
	;;#ASMEND
	;;#ASMSTART
	
             v_fmac_f32 v57, v22, v1 
             
	;;#ASMEND
	;; [unrolled: 5-line block ×16, first 2 shown]
	ds_read_b128 v[0:3], v95 offset:21248
	ds_read_b128 v[22:25], v94 offset:4864
	s_waitcnt lgkmcnt(2)
	;;#ASMSTART
	
             v_fmac_f32 v90, v8, v16 
             
	;;#ASMEND
	;;#ASMSTART
	
             v_fmac_f32 v91, v8, v17 
             
	;;#ASMEND
	;; [unrolled: 5-line block ×16, first 2 shown]
	s_waitcnt lgkmcnt(1)
	;;#ASMSTART
	
             v_fmac_f32 v88, v8, v0 
             
	;;#ASMEND
	;;#ASMSTART
	
             v_fmac_f32 v89, v8, v1 
             
	;;#ASMEND
	;; [unrolled: 5-line block ×16, first 2 shown]
	ds_read_b128 v[8:11], v94 offset:5120
	s_waitcnt lgkmcnt(1)
	;;#ASMSTART
	
             v_fmac_f32 v60, v22, v16 
             
	;;#ASMEND
	;;#ASMSTART
	
             v_fmac_f32 v61, v22, v17 
             
	;;#ASMEND
	;; [unrolled: 5-line block ×16, first 2 shown]
	ds_read_b128 v[16:19], v95 offset:21504
	;;#ASMSTART
	
             v_fmac_f32 v56, v22, v0 
             
	;;#ASMEND
	;;#ASMSTART
	
             v_fmac_f32 v57, v22, v1 
             
	;;#ASMEND
	;;#ASMSTART
	
             v_fmac_f32 v46, v22, v2 
             
	;;#ASMEND
	;;#ASMSTART
	
             v_fmac_f32 v47, v22, v3 
             
	;;#ASMEND
	;;#ASMSTART
	
             v_fmac_f32 v86, v23, v0 
             
	;;#ASMEND
	;;#ASMSTART
	
             v_fmac_f32 v87, v23, v1 
             
	;;#ASMEND
	;;#ASMSTART
	
             v_fmac_f32 v84, v23, v2 
             
	;;#ASMEND
	;;#ASMSTART
	
             v_fmac_f32 v85, v23, v3 
             
	;;#ASMEND
	;;#ASMSTART
	
             v_fmac_f32 v102, v24, v0 
             
	;;#ASMEND
	;;#ASMSTART
	
             v_fmac_f32 v103, v24, v1 
             
	;;#ASMEND
	;;#ASMSTART
	
             v_fmac_f32 v100, v24, v2 
             
	;;#ASMEND
	;;#ASMSTART
	
             v_fmac_f32 v101, v24, v3 
             
	;;#ASMEND
	;;#ASMSTART
	
             v_fmac_f32 v118, v25, v0 
             
	;;#ASMEND
	;;#ASMSTART
	
             v_fmac_f32 v119, v25, v1 
             
	;;#ASMEND
	;;#ASMSTART
	
             v_fmac_f32 v40, v25, v2 
             
	;;#ASMEND
	;;#ASMSTART
	
             v_fmac_f32 v41, v25, v3 
             
	;;#ASMEND
	ds_read_b128 v[0:3], v95 offset:21760
	ds_read_b128 v[22:25], v94 offset:5376
	s_waitcnt lgkmcnt(2)
	;;#ASMSTART
	
             v_fmac_f32 v90, v8, v16 
             
	;;#ASMEND
	;;#ASMSTART
	
             v_fmac_f32 v91, v8, v17 
             
	;;#ASMEND
	;; [unrolled: 5-line block ×16, first 2 shown]
	s_waitcnt lgkmcnt(1)
	;;#ASMSTART
	
             v_fmac_f32 v88, v8, v0 
             
	;;#ASMEND
	;;#ASMSTART
	
             v_fmac_f32 v89, v8, v1 
             
	;;#ASMEND
	;; [unrolled: 5-line block ×16, first 2 shown]
	ds_read_b128 v[8:11], v94 offset:5632
	s_waitcnt lgkmcnt(1)
	;;#ASMSTART
	
             v_fmac_f32 v60, v22, v16 
             
	;;#ASMEND
	;;#ASMSTART
	
             v_fmac_f32 v61, v22, v17 
             
	;;#ASMEND
	;; [unrolled: 5-line block ×16, first 2 shown]
	ds_read_b128 v[16:19], v95 offset:22016
	;;#ASMSTART
	
             v_fmac_f32 v56, v22, v0 
             
	;;#ASMEND
	;;#ASMSTART
	
             v_fmac_f32 v57, v22, v1 
             
	;;#ASMEND
	;; [unrolled: 5-line block ×16, first 2 shown]
	ds_read_b128 v[0:3], v95 offset:22272
	ds_read_b128 v[22:25], v94 offset:5888
	s_waitcnt lgkmcnt(2)
	;;#ASMSTART
	
             v_fmac_f32 v90, v8, v16 
             
	;;#ASMEND
	;;#ASMSTART
	
             v_fmac_f32 v91, v8, v17 
             
	;;#ASMEND
	;; [unrolled: 5-line block ×16, first 2 shown]
	s_waitcnt lgkmcnt(1)
	;;#ASMSTART
	
             v_fmac_f32 v88, v8, v0 
             
	;;#ASMEND
	;;#ASMSTART
	
             v_fmac_f32 v89, v8, v1 
             
	;;#ASMEND
	;; [unrolled: 5-line block ×16, first 2 shown]
	ds_read_b128 v[8:11], v94 offset:6144
	s_waitcnt lgkmcnt(1)
	;;#ASMSTART
	
             v_fmac_f32 v60, v22, v16 
             
	;;#ASMEND
	;;#ASMSTART
	
             v_fmac_f32 v61, v22, v17 
             
	;;#ASMEND
	;; [unrolled: 5-line block ×16, first 2 shown]
	ds_read_b128 v[16:19], v95 offset:22528
	;;#ASMSTART
	
             v_fmac_f32 v56, v22, v0 
             
	;;#ASMEND
	;;#ASMSTART
	
             v_fmac_f32 v57, v22, v1 
             
	;;#ASMEND
	;; [unrolled: 5-line block ×16, first 2 shown]
	ds_read_b128 v[0:3], v95 offset:22784
	ds_read_b128 v[22:25], v94 offset:6400
	s_waitcnt lgkmcnt(2)
	;;#ASMSTART
	
             v_fmac_f32 v90, v8, v16 
             
	;;#ASMEND
	;;#ASMSTART
	
             v_fmac_f32 v91, v8, v17 
             
	;;#ASMEND
	;; [unrolled: 5-line block ×16, first 2 shown]
	s_waitcnt lgkmcnt(1)
	;;#ASMSTART
	
             v_fmac_f32 v88, v8, v0 
             
	;;#ASMEND
	;;#ASMSTART
	
             v_fmac_f32 v89, v8, v1 
             
	;;#ASMEND
	;; [unrolled: 5-line block ×16, first 2 shown]
	ds_read_b128 v[8:11], v94 offset:6656
	s_waitcnt lgkmcnt(1)
	;;#ASMSTART
	
             v_fmac_f32 v60, v22, v16 
             
	;;#ASMEND
	;;#ASMSTART
	
             v_fmac_f32 v61, v22, v17 
             
	;;#ASMEND
	;; [unrolled: 5-line block ×16, first 2 shown]
	ds_read_b128 v[16:19], v95 offset:23040
	;;#ASMSTART
	
             v_fmac_f32 v56, v22, v0 
             
	;;#ASMEND
	;;#ASMSTART
	
             v_fmac_f32 v57, v22, v1 
             
	;;#ASMEND
	;; [unrolled: 5-line block ×16, first 2 shown]
	ds_read_b128 v[0:3], v95 offset:23296
	ds_read_b128 v[22:25], v94 offset:6912
	s_waitcnt lgkmcnt(2)
	;;#ASMSTART
	
             v_fmac_f32 v90, v8, v16 
             
	;;#ASMEND
	;;#ASMSTART
	
             v_fmac_f32 v91, v8, v17 
             
	;;#ASMEND
	;; [unrolled: 5-line block ×16, first 2 shown]
	s_waitcnt lgkmcnt(1)
	;;#ASMSTART
	
             v_fmac_f32 v88, v8, v0 
             
	;;#ASMEND
	;;#ASMSTART
	
             v_fmac_f32 v89, v8, v1 
             
	;;#ASMEND
	;; [unrolled: 5-line block ×16, first 2 shown]
	ds_read_b128 v[8:11], v94 offset:7168
	s_waitcnt lgkmcnt(1)
	;;#ASMSTART
	
             v_fmac_f32 v60, v22, v16 
             
	;;#ASMEND
	;;#ASMSTART
	
             v_fmac_f32 v61, v22, v17 
             
	;;#ASMEND
	;; [unrolled: 5-line block ×16, first 2 shown]
	ds_read_b128 v[16:19], v95 offset:23552
	;;#ASMSTART
	
             v_fmac_f32 v56, v22, v0 
             
	;;#ASMEND
	;;#ASMSTART
	
             v_fmac_f32 v57, v22, v1 
             
	;;#ASMEND
	;; [unrolled: 5-line block ×16, first 2 shown]
	ds_read_b128 v[0:3], v95 offset:23808
	ds_read_b128 v[22:25], v94 offset:7424
	s_waitcnt lgkmcnt(2)
	;;#ASMSTART
	
             v_fmac_f32 v90, v8, v16 
             
	;;#ASMEND
	;;#ASMSTART
	
             v_fmac_f32 v91, v8, v17 
             
	;;#ASMEND
	;; [unrolled: 5-line block ×16, first 2 shown]
	s_waitcnt lgkmcnt(1)
	;;#ASMSTART
	
             v_fmac_f32 v88, v8, v0 
             
	;;#ASMEND
	;;#ASMSTART
	
             v_fmac_f32 v89, v8, v1 
             
	;;#ASMEND
	;;#ASMSTART
	
             v_fmac_f32 v78, v8, v2 
             
	;;#ASMEND
	;;#ASMSTART
	
             v_fmac_f32 v79, v8, v3 
             
	;;#ASMEND
	;;#ASMSTART
	
             v_fmac_f32 v70, v9, v0 
             
	;;#ASMEND
	;;#ASMSTART
	
             v_fmac_f32 v71, v9, v1 
             
	;;#ASMEND
	;;#ASMSTART
	
             v_fmac_f32 v68, v9, v2 
             
	;;#ASMEND
	;;#ASMSTART
	
             v_fmac_f32 v69, v9, v3 
             
	;;#ASMEND
	;;#ASMSTART
	
             v_fmac_f32 v66, v10, v0 
             
	;;#ASMEND
	;;#ASMSTART
	
             v_fmac_f32 v67, v10, v1 
             
	;;#ASMEND
	;;#ASMSTART
	
             v_fmac_f32 v64, v10, v2 
             
	;;#ASMEND
	;;#ASMSTART
	
             v_fmac_f32 v65, v10, v3 
             
	;;#ASMEND
	;;#ASMSTART
	
             v_fmac_f32 v82, v11, v0 
             
	;;#ASMEND
	;;#ASMSTART
	
             v_fmac_f32 v83, v11, v1 
             
	;;#ASMEND
	;;#ASMSTART
	
             v_fmac_f32 v80, v11, v2 
             
	;;#ASMEND
	;;#ASMSTART
	
             v_fmac_f32 v81, v11, v3 
             
	;;#ASMEND
	ds_read_b128 v[8:11], v94 offset:7680
	s_waitcnt lgkmcnt(1)
	;;#ASMSTART
	
             v_fmac_f32 v60, v22, v16 
             
	;;#ASMEND
	;;#ASMSTART
	
             v_fmac_f32 v61, v22, v17 
             
	;;#ASMEND
	;; [unrolled: 5-line block ×16, first 2 shown]
	ds_read_b128 v[16:19], v95 offset:24064
	;;#ASMSTART
	
             v_fmac_f32 v56, v22, v0 
             
	;;#ASMEND
	;;#ASMSTART
	
             v_fmac_f32 v57, v22, v1 
             
	;;#ASMEND
	;; [unrolled: 5-line block ×16, first 2 shown]
	ds_read_b128 v[0:3], v95 offset:24320
	ds_read_b128 v[22:25], v94 offset:7936
	s_waitcnt lgkmcnt(2)
	;;#ASMSTART
	
             v_fmac_f32 v90, v8, v16 
             
	;;#ASMEND
	;;#ASMSTART
	
             v_fmac_f32 v91, v8, v17 
             
	;;#ASMEND
	;; [unrolled: 5-line block ×16, first 2 shown]
	s_waitcnt lgkmcnt(1)
	;;#ASMSTART
	
             v_fmac_f32 v88, v8, v0 
             
	;;#ASMEND
	;;#ASMSTART
	
             v_fmac_f32 v89, v8, v1 
             
	;;#ASMEND
	;; [unrolled: 5-line block ×16, first 2 shown]
	s_waitcnt lgkmcnt(0)
	;;#ASMSTART
	
             v_fmac_f32 v60, v22, v16 
             
	;;#ASMEND
	;;#ASMSTART
	
             v_fmac_f32 v61, v22, v17 
             
	;;#ASMEND
	;; [unrolled: 5-line block ×29, first 2 shown]
	v_accvgpr_read_b32 v0, a9
	;;#ASMSTART
	
             v_fmac_f32 v119, v25, v1 
             
	;;#ASMEND
	;;#ASMSTART
	
             v_fmac_f32 v40, v25, v2 
             
	;;#ASMEND
	;; [unrolled: 5-line block ×3, first 2 shown]
	ds_write2st64_b32 v0, v27, v28 offset0:2 offset1:4
	ds_write2st64_b32 v0, v29, v30 offset0:6 offset1:8
	;; [unrolled: 1-line block ×3, first 2 shown]
	ds_write_b32 v0, v12 offset:3584
	v_accvgpr_read_b32 v0, a7
	ds_write2st64_b32 v0, v26, v33 offset0:32 offset1:96
	v_accvgpr_read_b32 v0, a8
	ds_write2st64_b32 v0, v32, v31 offset0:2 offset1:4
	ds_write2st64_b32 v0, v14, v35 offset0:6 offset1:8
	;; [unrolled: 1-line block ×3, first 2 shown]
	ds_write_b32 v0, v4 offset:3584
	s_waitcnt lgkmcnt(0)
	s_barrier
	ds_read_b128 v[8:11], v94 offset:8192
	ds_read_b128 v[16:19], v95 offset:24576
	;; [unrolled: 1-line block ×4, first 2 shown]
	s_waitcnt lgkmcnt(2)
	;;#ASMSTART
	
             v_fmac_f32 v90, v8, v16 
             
	;;#ASMEND
	;;#ASMSTART
	
             v_fmac_f32 v91, v8, v17 
             
	;;#ASMEND
	;; [unrolled: 5-line block ×16, first 2 shown]
	s_waitcnt lgkmcnt(1)
	;;#ASMSTART
	
             v_fmac_f32 v88, v8, v0 
             
	;;#ASMEND
	;;#ASMSTART
	
             v_fmac_f32 v89, v8, v1 
             
	;;#ASMEND
	;;#ASMSTART
	
             v_fmac_f32 v78, v8, v2 
             
	;;#ASMEND
	;;#ASMSTART
	
             v_fmac_f32 v79, v8, v3 
             
	;;#ASMEND
	;;#ASMSTART
	
             v_fmac_f32 v70, v9, v0 
             
	;;#ASMEND
	;;#ASMSTART
	
             v_fmac_f32 v71, v9, v1 
             
	;;#ASMEND
	;;#ASMSTART
	
             v_fmac_f32 v68, v9, v2 
             
	;;#ASMEND
	;;#ASMSTART
	
             v_fmac_f32 v69, v9, v3 
             
	;;#ASMEND
	;;#ASMSTART
	
             v_fmac_f32 v66, v10, v0 
             
	;;#ASMEND
	;;#ASMSTART
	
             v_fmac_f32 v67, v10, v1 
             
	;;#ASMEND
	;;#ASMSTART
	
             v_fmac_f32 v64, v10, v2 
             
	;;#ASMEND
	;;#ASMSTART
	
             v_fmac_f32 v65, v10, v3 
             
	;;#ASMEND
	;;#ASMSTART
	
             v_fmac_f32 v82, v11, v0 
             
	;;#ASMEND
	;;#ASMSTART
	
             v_fmac_f32 v83, v11, v1 
             
	;;#ASMEND
	;;#ASMSTART
	
             v_fmac_f32 v80, v11, v2 
             
	;;#ASMEND
	;;#ASMSTART
	
             v_fmac_f32 v81, v11, v3 
             
	;;#ASMEND
	ds_read_b128 v[8:11], v94 offset:8704
	s_waitcnt lgkmcnt(1)
	;;#ASMSTART
	
             v_fmac_f32 v60, v22, v16 
             
	;;#ASMEND
	;;#ASMSTART
	
             v_fmac_f32 v61, v22, v17 
             
	;;#ASMEND
	;; [unrolled: 5-line block ×16, first 2 shown]
	ds_read_b128 v[16:19], v95 offset:25088
	;;#ASMSTART
	
             v_fmac_f32 v56, v22, v0 
             
	;;#ASMEND
	;;#ASMSTART
	
             v_fmac_f32 v57, v22, v1 
             
	;;#ASMEND
	;; [unrolled: 5-line block ×16, first 2 shown]
	ds_read_b128 v[0:3], v95 offset:25344
	ds_read_b128 v[22:25], v94 offset:8960
	s_waitcnt lgkmcnt(2)
	;;#ASMSTART
	
             v_fmac_f32 v90, v8, v16 
             
	;;#ASMEND
	;;#ASMSTART
	
             v_fmac_f32 v91, v8, v17 
             
	;;#ASMEND
	;; [unrolled: 5-line block ×16, first 2 shown]
	s_waitcnt lgkmcnt(1)
	;;#ASMSTART
	
             v_fmac_f32 v88, v8, v0 
             
	;;#ASMEND
	;;#ASMSTART
	
             v_fmac_f32 v89, v8, v1 
             
	;;#ASMEND
	;;#ASMSTART
	
             v_fmac_f32 v78, v8, v2 
             
	;;#ASMEND
	;;#ASMSTART
	
             v_fmac_f32 v79, v8, v3 
             
	;;#ASMEND
	;;#ASMSTART
	
             v_fmac_f32 v70, v9, v0 
             
	;;#ASMEND
	;;#ASMSTART
	
             v_fmac_f32 v71, v9, v1 
             
	;;#ASMEND
	;;#ASMSTART
	
             v_fmac_f32 v68, v9, v2 
             
	;;#ASMEND
	;;#ASMSTART
	
             v_fmac_f32 v69, v9, v3 
             
	;;#ASMEND
	;;#ASMSTART
	
             v_fmac_f32 v66, v10, v0 
             
	;;#ASMEND
	;;#ASMSTART
	
             v_fmac_f32 v67, v10, v1 
             
	;;#ASMEND
	;;#ASMSTART
	
             v_fmac_f32 v64, v10, v2 
             
	;;#ASMEND
	;;#ASMSTART
	
             v_fmac_f32 v65, v10, v3 
             
	;;#ASMEND
	;;#ASMSTART
	
             v_fmac_f32 v82, v11, v0 
             
	;;#ASMEND
	;;#ASMSTART
	
             v_fmac_f32 v83, v11, v1 
             
	;;#ASMEND
	;;#ASMSTART
	
             v_fmac_f32 v80, v11, v2 
             
	;;#ASMEND
	;;#ASMSTART
	
             v_fmac_f32 v81, v11, v3 
             
	;;#ASMEND
	ds_read_b128 v[8:11], v94 offset:9216
	s_waitcnt lgkmcnt(1)
	;;#ASMSTART
	
             v_fmac_f32 v60, v22, v16 
             
	;;#ASMEND
	;;#ASMSTART
	
             v_fmac_f32 v61, v22, v17 
             
	;;#ASMEND
	;; [unrolled: 5-line block ×16, first 2 shown]
	ds_read_b128 v[16:19], v95 offset:25600
	;;#ASMSTART
	
             v_fmac_f32 v56, v22, v0 
             
	;;#ASMEND
	;;#ASMSTART
	
             v_fmac_f32 v57, v22, v1 
             
	;;#ASMEND
	;; [unrolled: 5-line block ×16, first 2 shown]
	ds_read_b128 v[0:3], v95 offset:25856
	ds_read_b128 v[22:25], v94 offset:9472
	s_waitcnt lgkmcnt(2)
	;;#ASMSTART
	
             v_fmac_f32 v90, v8, v16 
             
	;;#ASMEND
	;;#ASMSTART
	
             v_fmac_f32 v91, v8, v17 
             
	;;#ASMEND
	;; [unrolled: 5-line block ×16, first 2 shown]
	s_waitcnt lgkmcnt(1)
	;;#ASMSTART
	
             v_fmac_f32 v88, v8, v0 
             
	;;#ASMEND
	;;#ASMSTART
	
             v_fmac_f32 v89, v8, v1 
             
	;;#ASMEND
	;;#ASMSTART
	
             v_fmac_f32 v78, v8, v2 
             
	;;#ASMEND
	;;#ASMSTART
	
             v_fmac_f32 v79, v8, v3 
             
	;;#ASMEND
	;;#ASMSTART
	
             v_fmac_f32 v70, v9, v0 
             
	;;#ASMEND
	;;#ASMSTART
	
             v_fmac_f32 v71, v9, v1 
             
	;;#ASMEND
	;;#ASMSTART
	
             v_fmac_f32 v68, v9, v2 
             
	;;#ASMEND
	;;#ASMSTART
	
             v_fmac_f32 v69, v9, v3 
             
	;;#ASMEND
	;;#ASMSTART
	
             v_fmac_f32 v66, v10, v0 
             
	;;#ASMEND
	;;#ASMSTART
	
             v_fmac_f32 v67, v10, v1 
             
	;;#ASMEND
	;;#ASMSTART
	
             v_fmac_f32 v64, v10, v2 
             
	;;#ASMEND
	;;#ASMSTART
	
             v_fmac_f32 v65, v10, v3 
             
	;;#ASMEND
	;;#ASMSTART
	
             v_fmac_f32 v82, v11, v0 
             
	;;#ASMEND
	;;#ASMSTART
	
             v_fmac_f32 v83, v11, v1 
             
	;;#ASMEND
	;;#ASMSTART
	
             v_fmac_f32 v80, v11, v2 
             
	;;#ASMEND
	;;#ASMSTART
	
             v_fmac_f32 v81, v11, v3 
             
	;;#ASMEND
	ds_read_b128 v[8:11], v94 offset:9728
	s_waitcnt lgkmcnt(1)
	;;#ASMSTART
	
             v_fmac_f32 v60, v22, v16 
             
	;;#ASMEND
	;;#ASMSTART
	
             v_fmac_f32 v61, v22, v17 
             
	;;#ASMEND
	;; [unrolled: 5-line block ×16, first 2 shown]
	ds_read_b128 v[16:19], v95 offset:26112
	;;#ASMSTART
	
             v_fmac_f32 v56, v22, v0 
             
	;;#ASMEND
	;;#ASMSTART
	
             v_fmac_f32 v57, v22, v1 
             
	;;#ASMEND
	;; [unrolled: 5-line block ×16, first 2 shown]
	ds_read_b128 v[0:3], v95 offset:26368
	ds_read_b128 v[22:25], v94 offset:9984
	s_waitcnt lgkmcnt(2)
	;;#ASMSTART
	
             v_fmac_f32 v90, v8, v16 
             
	;;#ASMEND
	;;#ASMSTART
	
             v_fmac_f32 v91, v8, v17 
             
	;;#ASMEND
	;; [unrolled: 5-line block ×16, first 2 shown]
	s_waitcnt lgkmcnt(1)
	;;#ASMSTART
	
             v_fmac_f32 v88, v8, v0 
             
	;;#ASMEND
	;;#ASMSTART
	
             v_fmac_f32 v89, v8, v1 
             
	;;#ASMEND
	;; [unrolled: 5-line block ×16, first 2 shown]
	ds_read_b128 v[8:11], v94 offset:10240
	s_waitcnt lgkmcnt(1)
	;;#ASMSTART
	
             v_fmac_f32 v60, v22, v16 
             
	;;#ASMEND
	;;#ASMSTART
	
             v_fmac_f32 v61, v22, v17 
             
	;;#ASMEND
	;; [unrolled: 5-line block ×16, first 2 shown]
	ds_read_b128 v[16:19], v95 offset:26624
	;;#ASMSTART
	
             v_fmac_f32 v56, v22, v0 
             
	;;#ASMEND
	;;#ASMSTART
	
             v_fmac_f32 v57, v22, v1 
             
	;;#ASMEND
	;; [unrolled: 5-line block ×16, first 2 shown]
	ds_read_b128 v[0:3], v95 offset:26880
	ds_read_b128 v[22:25], v94 offset:10496
	s_waitcnt lgkmcnt(2)
	;;#ASMSTART
	
             v_fmac_f32 v90, v8, v16 
             
	;;#ASMEND
	;;#ASMSTART
	
             v_fmac_f32 v91, v8, v17 
             
	;;#ASMEND
	;; [unrolled: 5-line block ×16, first 2 shown]
	s_waitcnt lgkmcnt(1)
	;;#ASMSTART
	
             v_fmac_f32 v88, v8, v0 
             
	;;#ASMEND
	;;#ASMSTART
	
             v_fmac_f32 v89, v8, v1 
             
	;;#ASMEND
	;; [unrolled: 5-line block ×16, first 2 shown]
	ds_read_b128 v[8:11], v94 offset:10752
	s_waitcnt lgkmcnt(1)
	;;#ASMSTART
	
             v_fmac_f32 v60, v22, v16 
             
	;;#ASMEND
	;;#ASMSTART
	
             v_fmac_f32 v61, v22, v17 
             
	;;#ASMEND
	;; [unrolled: 5-line block ×16, first 2 shown]
	ds_read_b128 v[16:19], v95 offset:27136
	;;#ASMSTART
	
             v_fmac_f32 v56, v22, v0 
             
	;;#ASMEND
	;;#ASMSTART
	
             v_fmac_f32 v57, v22, v1 
             
	;;#ASMEND
	;; [unrolled: 5-line block ×16, first 2 shown]
	ds_read_b128 v[0:3], v95 offset:27392
	ds_read_b128 v[22:25], v94 offset:11008
	s_waitcnt lgkmcnt(2)
	;;#ASMSTART
	
             v_fmac_f32 v90, v8, v16 
             
	;;#ASMEND
	;;#ASMSTART
	
             v_fmac_f32 v91, v8, v17 
             
	;;#ASMEND
	;; [unrolled: 5-line block ×16, first 2 shown]
	s_waitcnt lgkmcnt(1)
	;;#ASMSTART
	
             v_fmac_f32 v88, v8, v0 
             
	;;#ASMEND
	;;#ASMSTART
	
             v_fmac_f32 v89, v8, v1 
             
	;;#ASMEND
	;; [unrolled: 5-line block ×16, first 2 shown]
	ds_read_b128 v[8:11], v94 offset:11264
	s_waitcnt lgkmcnt(1)
	;;#ASMSTART
	
             v_fmac_f32 v60, v22, v16 
             
	;;#ASMEND
	;;#ASMSTART
	
             v_fmac_f32 v61, v22, v17 
             
	;;#ASMEND
	;; [unrolled: 5-line block ×16, first 2 shown]
	ds_read_b128 v[16:19], v95 offset:27648
	;;#ASMSTART
	
             v_fmac_f32 v56, v22, v0 
             
	;;#ASMEND
	;;#ASMSTART
	
             v_fmac_f32 v57, v22, v1 
             
	;;#ASMEND
	;; [unrolled: 5-line block ×16, first 2 shown]
	ds_read_b128 v[0:3], v95 offset:27904
	ds_read_b128 v[22:25], v94 offset:11520
	s_waitcnt lgkmcnt(2)
	;;#ASMSTART
	
             v_fmac_f32 v90, v8, v16 
             
	;;#ASMEND
	;;#ASMSTART
	
             v_fmac_f32 v91, v8, v17 
             
	;;#ASMEND
	;; [unrolled: 5-line block ×16, first 2 shown]
	s_waitcnt lgkmcnt(1)
	;;#ASMSTART
	
             v_fmac_f32 v88, v8, v0 
             
	;;#ASMEND
	;;#ASMSTART
	
             v_fmac_f32 v89, v8, v1 
             
	;;#ASMEND
	;; [unrolled: 5-line block ×16, first 2 shown]
	ds_read_b128 v[8:11], v94 offset:11776
	s_waitcnt lgkmcnt(1)
	;;#ASMSTART
	
             v_fmac_f32 v60, v22, v16 
             
	;;#ASMEND
	;;#ASMSTART
	
             v_fmac_f32 v61, v22, v17 
             
	;;#ASMEND
	;; [unrolled: 5-line block ×16, first 2 shown]
	ds_read_b128 v[16:19], v95 offset:28160
	;;#ASMSTART
	
             v_fmac_f32 v56, v22, v0 
             
	;;#ASMEND
	;;#ASMSTART
	
             v_fmac_f32 v57, v22, v1 
             
	;;#ASMEND
	;; [unrolled: 5-line block ×16, first 2 shown]
	ds_read_b128 v[0:3], v95 offset:28416
	ds_read_b128 v[22:25], v94 offset:12032
	s_waitcnt lgkmcnt(2)
	;;#ASMSTART
	
             v_fmac_f32 v90, v8, v16 
             
	;;#ASMEND
	;;#ASMSTART
	
             v_fmac_f32 v91, v8, v17 
             
	;;#ASMEND
	;; [unrolled: 5-line block ×16, first 2 shown]
	s_waitcnt lgkmcnt(1)
	;;#ASMSTART
	
             v_fmac_f32 v88, v8, v0 
             
	;;#ASMEND
	;;#ASMSTART
	
             v_fmac_f32 v89, v8, v1 
             
	;;#ASMEND
	;; [unrolled: 5-line block ×16, first 2 shown]
	ds_read_b128 v[8:11], v94 offset:12288
	s_waitcnt lgkmcnt(1)
	;;#ASMSTART
	
             v_fmac_f32 v60, v22, v16 
             
	;;#ASMEND
	;;#ASMSTART
	
             v_fmac_f32 v61, v22, v17 
             
	;;#ASMEND
	;; [unrolled: 5-line block ×16, first 2 shown]
	ds_read_b128 v[16:19], v95 offset:28672
	;;#ASMSTART
	
             v_fmac_f32 v56, v22, v0 
             
	;;#ASMEND
	;;#ASMSTART
	
             v_fmac_f32 v57, v22, v1 
             
	;;#ASMEND
	;; [unrolled: 5-line block ×16, first 2 shown]
	ds_read_b128 v[0:3], v95 offset:28928
	ds_read_b128 v[22:25], v94 offset:12544
	s_waitcnt lgkmcnt(2)
	;;#ASMSTART
	
             v_fmac_f32 v90, v8, v16 
             
	;;#ASMEND
	;;#ASMSTART
	
             v_fmac_f32 v91, v8, v17 
             
	;;#ASMEND
	;; [unrolled: 5-line block ×16, first 2 shown]
	s_waitcnt lgkmcnt(1)
	;;#ASMSTART
	
             v_fmac_f32 v88, v8, v0 
             
	;;#ASMEND
	;;#ASMSTART
	
             v_fmac_f32 v89, v8, v1 
             
	;;#ASMEND
	;; [unrolled: 5-line block ×16, first 2 shown]
	ds_read_b128 v[8:11], v94 offset:12800
	s_waitcnt lgkmcnt(1)
	;;#ASMSTART
	
             v_fmac_f32 v60, v22, v16 
             
	;;#ASMEND
	;;#ASMSTART
	
             v_fmac_f32 v61, v22, v17 
             
	;;#ASMEND
	;; [unrolled: 5-line block ×16, first 2 shown]
	ds_read_b128 v[16:19], v95 offset:29184
	;;#ASMSTART
	
             v_fmac_f32 v56, v22, v0 
             
	;;#ASMEND
	;;#ASMSTART
	
             v_fmac_f32 v57, v22, v1 
             
	;;#ASMEND
	;; [unrolled: 5-line block ×16, first 2 shown]
	ds_read_b128 v[0:3], v95 offset:29440
	ds_read_b128 v[22:25], v94 offset:13056
	s_waitcnt lgkmcnt(2)
	;;#ASMSTART
	
             v_fmac_f32 v90, v8, v16 
             
	;;#ASMEND
	;;#ASMSTART
	
             v_fmac_f32 v91, v8, v17 
             
	;;#ASMEND
	;; [unrolled: 5-line block ×16, first 2 shown]
	s_waitcnt lgkmcnt(1)
	;;#ASMSTART
	
             v_fmac_f32 v88, v8, v0 
             
	;;#ASMEND
	;;#ASMSTART
	
             v_fmac_f32 v89, v8, v1 
             
	;;#ASMEND
	;; [unrolled: 5-line block ×16, first 2 shown]
	ds_read_b128 v[8:11], v94 offset:13312
	s_waitcnt lgkmcnt(1)
	;;#ASMSTART
	
             v_fmac_f32 v60, v22, v16 
             
	;;#ASMEND
	;;#ASMSTART
	
             v_fmac_f32 v61, v22, v17 
             
	;;#ASMEND
	;; [unrolled: 5-line block ×16, first 2 shown]
	ds_read_b128 v[16:19], v95 offset:29696
	;;#ASMSTART
	
             v_fmac_f32 v56, v22, v0 
             
	;;#ASMEND
	;;#ASMSTART
	
             v_fmac_f32 v57, v22, v1 
             
	;;#ASMEND
	;; [unrolled: 5-line block ×16, first 2 shown]
	ds_read_b128 v[0:3], v95 offset:29952
	ds_read_b128 v[22:25], v94 offset:13568
	s_waitcnt lgkmcnt(2)
	;;#ASMSTART
	
             v_fmac_f32 v90, v8, v16 
             
	;;#ASMEND
	;;#ASMSTART
	
             v_fmac_f32 v91, v8, v17 
             
	;;#ASMEND
	;; [unrolled: 5-line block ×16, first 2 shown]
	s_waitcnt lgkmcnt(1)
	;;#ASMSTART
	
             v_fmac_f32 v88, v8, v0 
             
	;;#ASMEND
	;;#ASMSTART
	
             v_fmac_f32 v89, v8, v1 
             
	;;#ASMEND
	;; [unrolled: 5-line block ×16, first 2 shown]
	ds_read_b128 v[8:11], v94 offset:13824
	s_waitcnt lgkmcnt(1)
	;;#ASMSTART
	
             v_fmac_f32 v60, v22, v16 
             
	;;#ASMEND
	;;#ASMSTART
	
             v_fmac_f32 v61, v22, v17 
             
	;;#ASMEND
	;; [unrolled: 5-line block ×16, first 2 shown]
	ds_read_b128 v[16:19], v95 offset:30208
	;;#ASMSTART
	
             v_fmac_f32 v56, v22, v0 
             
	;;#ASMEND
	;;#ASMSTART
	
             v_fmac_f32 v57, v22, v1 
             
	;;#ASMEND
	;; [unrolled: 5-line block ×16, first 2 shown]
	ds_read_b128 v[0:3], v95 offset:30464
	ds_read_b128 v[22:25], v94 offset:14080
	s_waitcnt lgkmcnt(2)
	;;#ASMSTART
	
             v_fmac_f32 v90, v8, v16 
             
	;;#ASMEND
	;;#ASMSTART
	
             v_fmac_f32 v91, v8, v17 
             
	;;#ASMEND
	;; [unrolled: 5-line block ×16, first 2 shown]
	s_waitcnt lgkmcnt(1)
	;;#ASMSTART
	
             v_fmac_f32 v88, v8, v0 
             
	;;#ASMEND
	;;#ASMSTART
	
             v_fmac_f32 v89, v8, v1 
             
	;;#ASMEND
	;; [unrolled: 5-line block ×16, first 2 shown]
	ds_read_b128 v[8:11], v94 offset:14336
	s_waitcnt lgkmcnt(1)
	;;#ASMSTART
	
             v_fmac_f32 v60, v22, v16 
             
	;;#ASMEND
	;;#ASMSTART
	
             v_fmac_f32 v61, v22, v17 
             
	;;#ASMEND
	;; [unrolled: 5-line block ×16, first 2 shown]
	ds_read_b128 v[16:19], v95 offset:30720
	;;#ASMSTART
	
             v_fmac_f32 v56, v22, v0 
             
	;;#ASMEND
	;;#ASMSTART
	
             v_fmac_f32 v57, v22, v1 
             
	;;#ASMEND
	;; [unrolled: 5-line block ×16, first 2 shown]
	ds_read_b128 v[0:3], v95 offset:30976
	ds_read_b128 v[22:25], v94 offset:14592
	s_waitcnt lgkmcnt(2)
	;;#ASMSTART
	
             v_fmac_f32 v90, v8, v16 
             
	;;#ASMEND
	;;#ASMSTART
	
             v_fmac_f32 v91, v8, v17 
             
	;;#ASMEND
	;; [unrolled: 5-line block ×16, first 2 shown]
	s_waitcnt lgkmcnt(1)
	;;#ASMSTART
	
             v_fmac_f32 v88, v8, v0 
             
	;;#ASMEND
	;;#ASMSTART
	
             v_fmac_f32 v89, v8, v1 
             
	;;#ASMEND
	;; [unrolled: 5-line block ×16, first 2 shown]
	ds_read_b128 v[8:11], v94 offset:14848
	s_waitcnt lgkmcnt(1)
	;;#ASMSTART
	
             v_fmac_f32 v60, v22, v16 
             
	;;#ASMEND
	;;#ASMSTART
	
             v_fmac_f32 v61, v22, v17 
             
	;;#ASMEND
	;; [unrolled: 5-line block ×16, first 2 shown]
	ds_read_b128 v[16:19], v95 offset:31232
	;;#ASMSTART
	
             v_fmac_f32 v56, v22, v0 
             
	;;#ASMEND
	;;#ASMSTART
	
             v_fmac_f32 v57, v22, v1 
             
	;;#ASMEND
	;;#ASMSTART
	
             v_fmac_f32 v46, v22, v2 
             
	;;#ASMEND
	;;#ASMSTART
	
             v_fmac_f32 v47, v22, v3 
             
	;;#ASMEND
	;;#ASMSTART
	
             v_fmac_f32 v86, v23, v0 
             
	;;#ASMEND
	;;#ASMSTART
	
             v_fmac_f32 v87, v23, v1 
             
	;;#ASMEND
	;;#ASMSTART
	
             v_fmac_f32 v84, v23, v2 
             
	;;#ASMEND
	;;#ASMSTART
	
             v_fmac_f32 v85, v23, v3 
             
	;;#ASMEND
	;;#ASMSTART
	
             v_fmac_f32 v102, v24, v0 
             
	;;#ASMEND
	;;#ASMSTART
	
             v_fmac_f32 v103, v24, v1 
             
	;;#ASMEND
	;;#ASMSTART
	
             v_fmac_f32 v100, v24, v2 
             
	;;#ASMEND
	;;#ASMSTART
	
             v_fmac_f32 v101, v24, v3 
             
	;;#ASMEND
	;;#ASMSTART
	
             v_fmac_f32 v118, v25, v0 
             
	;;#ASMEND
	;;#ASMSTART
	
             v_fmac_f32 v119, v25, v1 
             
	;;#ASMEND
	;;#ASMSTART
	
             v_fmac_f32 v40, v25, v2 
             
	;;#ASMEND
	;;#ASMSTART
	
             v_fmac_f32 v41, v25, v3 
             
	;;#ASMEND
	ds_read_b128 v[0:3], v95 offset:31488
	ds_read_b128 v[22:25], v94 offset:15104
	s_waitcnt lgkmcnt(2)
	;;#ASMSTART
	
             v_fmac_f32 v90, v8, v16 
             
	;;#ASMEND
	;;#ASMSTART
	
             v_fmac_f32 v91, v8, v17 
             
	;;#ASMEND
	;; [unrolled: 5-line block ×16, first 2 shown]
	s_waitcnt lgkmcnt(1)
	;;#ASMSTART
	
             v_fmac_f32 v88, v8, v0 
             
	;;#ASMEND
	;;#ASMSTART
	
             v_fmac_f32 v89, v8, v1 
             
	;;#ASMEND
	;; [unrolled: 5-line block ×16, first 2 shown]
	ds_read_b128 v[8:11], v94 offset:15360
	s_waitcnt lgkmcnt(1)
	;;#ASMSTART
	
             v_fmac_f32 v60, v22, v16 
             
	;;#ASMEND
	;;#ASMSTART
	
             v_fmac_f32 v61, v22, v17 
             
	;;#ASMEND
	;; [unrolled: 5-line block ×16, first 2 shown]
	ds_read_b128 v[16:19], v95 offset:31744
	;;#ASMSTART
	
             v_fmac_f32 v56, v22, v0 
             
	;;#ASMEND
	;;#ASMSTART
	
             v_fmac_f32 v57, v22, v1 
             
	;;#ASMEND
	;; [unrolled: 5-line block ×16, first 2 shown]
	ds_read_b128 v[0:3], v95 offset:32000
	ds_read_b128 v[22:25], v94 offset:15616
	s_waitcnt lgkmcnt(2)
	;;#ASMSTART
	
             v_fmac_f32 v90, v8, v16 
             
	;;#ASMEND
	;;#ASMSTART
	
             v_fmac_f32 v91, v8, v17 
             
	;;#ASMEND
	;; [unrolled: 5-line block ×16, first 2 shown]
	s_waitcnt lgkmcnt(1)
	;;#ASMSTART
	
             v_fmac_f32 v88, v8, v0 
             
	;;#ASMEND
	;;#ASMSTART
	
             v_fmac_f32 v89, v8, v1 
             
	;;#ASMEND
	;; [unrolled: 5-line block ×16, first 2 shown]
	ds_read_b128 v[8:11], v94 offset:15872
	s_waitcnt lgkmcnt(1)
	;;#ASMSTART
	
             v_fmac_f32 v60, v22, v16 
             
	;;#ASMEND
	;;#ASMSTART
	
             v_fmac_f32 v61, v22, v17 
             
	;;#ASMEND
	;; [unrolled: 5-line block ×16, first 2 shown]
	ds_read_b128 v[16:19], v95 offset:32256
	;;#ASMSTART
	
             v_fmac_f32 v56, v22, v0 
             
	;;#ASMEND
	;;#ASMSTART
	
             v_fmac_f32 v57, v22, v1 
             
	;;#ASMEND
	;; [unrolled: 5-line block ×16, first 2 shown]
	ds_read_b128 v[0:3], v95 offset:32512
	ds_read_b128 v[22:25], v94 offset:16128
	s_waitcnt lgkmcnt(2)
	;;#ASMSTART
	
             v_fmac_f32 v90, v8, v16 
             
	;;#ASMEND
	;;#ASMSTART
	
             v_fmac_f32 v91, v8, v17 
             
	;;#ASMEND
	;; [unrolled: 5-line block ×16, first 2 shown]
	s_waitcnt lgkmcnt(1)
	;;#ASMSTART
	
             v_fmac_f32 v88, v8, v0 
             
	;;#ASMEND
	;;#ASMSTART
	
             v_fmac_f32 v89, v8, v1 
             
	;;#ASMEND
	;;#ASMSTART
	
             v_fmac_f32 v78, v8, v2 
             
	;;#ASMEND
	;;#ASMSTART
	
             v_fmac_f32 v79, v8, v3 
             
	;;#ASMEND
	;;#ASMSTART
	
             v_fmac_f32 v70, v9, v0 
             
	;;#ASMEND
	;;#ASMSTART
	
             v_fmac_f32 v71, v9, v1 
             
	;;#ASMEND
	;;#ASMSTART
	
             v_fmac_f32 v68, v9, v2 
             
	;;#ASMEND
	;;#ASMSTART
	
             v_fmac_f32 v69, v9, v3 
             
	;;#ASMEND
	;;#ASMSTART
	
             v_fmac_f32 v66, v10, v0 
             
	;;#ASMEND
	;;#ASMSTART
	
             v_fmac_f32 v67, v10, v1 
             
	;;#ASMEND
	;;#ASMSTART
	
             v_fmac_f32 v64, v10, v2 
             
	;;#ASMEND
	;;#ASMSTART
	
             v_fmac_f32 v65, v10, v3 
             
	;;#ASMEND
	;;#ASMSTART
	
             v_fmac_f32 v82, v11, v0 
             
	;;#ASMEND
	;;#ASMSTART
	
             v_fmac_f32 v83, v11, v1 
             
	;;#ASMEND
	;;#ASMSTART
	
             v_fmac_f32 v80, v11, v2 
             
	;;#ASMEND
	;;#ASMSTART
	
             v_fmac_f32 v81, v11, v3 
             
	;;#ASMEND
	s_waitcnt lgkmcnt(0)
	;;#ASMSTART
	
             v_fmac_f32 v60, v22, v16 
             
	;;#ASMEND
	;;#ASMSTART
	
             v_fmac_f32 v61, v22, v17 
             
	;;#ASMEND
	;; [unrolled: 5-line block ×30, first 2 shown]
	v_accvgpr_read_b32 v0, a4
	v_accvgpr_read_b32 v1, a5
	;;#ASMSTART
	
             v_fmac_f32 v40, v25, v2 
             
	;;#ASMEND
	;;#ASMSTART
	
             v_fmac_f32 v41, v25, v3 
             
	;;#ASMEND
	flat_load_dwordx2 v[4:5], v[0:1] offset:8
	flat_load_dword v10, v[0:1] offset:32
	flat_load_dword v93, v[0:1] offset:20
	s_nop 0
	flat_load_dword v1, v[0:1] offset:72
	v_accvgpr_read_b32 v0, a3
	v_lshl_add_u32 v14, s24, 7, v0
	v_accvgpr_read_b32 v0, a6
	v_lshl_add_u32 v92, s25, 7, v0
	v_mov_b32_e32 v23, 0x20000
	s_mov_b64 s[16:17], exec
	s_waitcnt vmcnt(0) lgkmcnt(0)
	v_mul_lo_u32 v0, v4, v92
	v_cmp_gt_i32_e32 vcc, v10, v14
	v_cmp_gt_i32_e64 s[6:7], v93, v92
	v_mad_u64_u32 v[8:9], s[4:5], v5, v14, v[0:1]
	s_and_b64 s[4:5], s[6:7], vcc
	v_lshlrev_b32_e32 v22, 2, v1
	v_lshlrev_b32_e32 v9, 2, v8
.LBB7_35:                               ; =>This Inner Loop Header: Depth=1
	v_readfirstlane_b32 s12, v20
	v_readfirstlane_b32 s13, v21
	;; [unrolled: 1-line block ×4, first 2 shown]
	v_cmp_eq_u64_e64 s[8:9], s[12:13], v[20:21]
	v_cmp_eq_u64_e64 s[10:11], s[14:15], v[22:23]
	s_and_b64 s[8:9], s[8:9], s[10:11]
	s_and_saveexec_b64 s[8:9], s[8:9]
	s_nop 0
	buffer_load_dwordx4 v[0:3], v9, s[12:15], 0 offen
                                        ; implicit-def: $vgpr9
	s_xor_b64 exec, exec, s[8:9]
	s_cbranch_execnz .LBB7_35
; %bb.36:
	s_mov_b64 exec, s[16:17]
	s_waitcnt vmcnt(0)
	v_cndmask_b32_e64 v3, 0, v3, s[4:5]
	v_cndmask_b32_e64 v2, 0, v2, s[4:5]
	;; [unrolled: 1-line block ×4, first 2 shown]
	v_add_u32_e32 v15, 64, v14
	v_pk_add_f32 v[0:1], v[90:91], v[0:1]
	v_pk_add_f32 v[2:3], v[38:39], v[2:3]
	v_lshlrev_b32_e32 v5, 6, v5
	v_cmp_gt_i32_e64 s[4:5], v10, v15
	v_max_f32_e32 v39, 0, v3
	v_max_f32_e32 v38, 0, v2
	;; [unrolled: 1-line block ×4, first 2 shown]
	s_and_b64 s[6:7], s[6:7], s[4:5]
	v_add_lshl_u32 v9, v8, v5, 2
	s_mov_b64 s[16:17], exec
.LBB7_37:                               ; =>This Inner Loop Header: Depth=1
	v_readfirstlane_b32 s12, v20
	v_readfirstlane_b32 s13, v21
	;; [unrolled: 1-line block ×4, first 2 shown]
	v_cmp_eq_u64_e64 s[8:9], s[12:13], v[20:21]
	v_cmp_eq_u64_e64 s[10:11], s[14:15], v[22:23]
	s_and_b64 s[8:9], s[8:9], s[10:11]
	s_and_saveexec_b64 s[8:9], s[8:9]
	s_nop 0
	buffer_load_dwordx4 v[0:3], v9, s[12:15], 0 offen
                                        ; implicit-def: $vgpr9
	s_xor_b64 exec, exec, s[8:9]
	s_cbranch_execnz .LBB7_37
; %bb.38:
	s_mov_b64 exec, s[16:17]
	s_waitcnt vmcnt(0)
	v_cndmask_b32_e64 v3, 0, v3, s[6:7]
	v_cndmask_b32_e64 v2, 0, v2, s[6:7]
	;; [unrolled: 1-line block ×4, first 2 shown]
	v_pk_add_f32 v[2:3], v[78:79], v[2:3]
	v_or_b32_e32 v78, 1, v92
	v_pk_add_f32 v[0:1], v[88:89], v[0:1]
	v_add_u32_e32 v8, v8, v4
	v_cmp_gt_i32_e64 s[6:7], v93, v78
	v_max_f32_e32 v51, 0, v3
	v_max_f32_e32 v50, 0, v2
	;; [unrolled: 1-line block ×4, first 2 shown]
	s_and_b64 s[8:9], s[6:7], vcc
	v_lshlrev_b32_e32 v9, 2, v8
	s_mov_b64 s[14:15], exec
.LBB7_39:                               ; =>This Inner Loop Header: Depth=1
	v_readfirstlane_b32 s16, v20
	v_readfirstlane_b32 s17, v21
	;; [unrolled: 1-line block ×4, first 2 shown]
	v_cmp_eq_u64_e64 s[10:11], s[16:17], v[20:21]
	v_cmp_eq_u64_e64 s[12:13], s[18:19], v[22:23]
	s_and_b64 s[10:11], s[10:11], s[12:13]
	s_and_saveexec_b64 s[10:11], s[10:11]
	s_nop 0
	buffer_load_dwordx4 v[0:3], v9, s[16:19], 0 offen
                                        ; implicit-def: $vgpr9
	s_xor_b64 exec, exec, s[10:11]
	s_cbranch_execnz .LBB7_39
; %bb.40:
	s_mov_b64 exec, s[14:15]
	s_waitcnt vmcnt(0)
	v_cndmask_b32_e64 v3, 0, v3, s[8:9]
	v_cndmask_b32_e64 v2, 0, v2, s[8:9]
	;; [unrolled: 1-line block ×4, first 2 shown]
	v_pk_add_f32 v[0:1], v[76:77], v[0:1]
	v_pk_add_f32 v[2:3], v[74:75], v[2:3]
	v_max_f32_e32 v19, 0, v3
	v_max_f32_e32 v18, 0, v2
	;; [unrolled: 1-line block ×4, first 2 shown]
	s_and_b64 s[6:7], s[6:7], s[4:5]
	v_add_lshl_u32 v9, v8, v5, 2
	s_mov_b64 s[16:17], exec
.LBB7_41:                               ; =>This Inner Loop Header: Depth=1
	v_readfirstlane_b32 s12, v20
	v_readfirstlane_b32 s13, v21
	v_readfirstlane_b32 s14, v22
	v_readfirstlane_b32 s15, v23
	v_cmp_eq_u64_e64 s[8:9], s[12:13], v[20:21]
	v_cmp_eq_u64_e64 s[10:11], s[14:15], v[22:23]
	s_and_b64 s[8:9], s[8:9], s[10:11]
	s_and_saveexec_b64 s[8:9], s[8:9]
	s_nop 0
	buffer_load_dwordx4 v[0:3], v9, s[12:15], 0 offen
                                        ; implicit-def: $vgpr9
	s_xor_b64 exec, exec, s[8:9]
	s_cbranch_execnz .LBB7_41
; %bb.42:
	s_mov_b64 exec, s[16:17]
	s_waitcnt vmcnt(0)
	v_cndmask_b32_e64 v3, 0, v3, s[6:7]
	v_cndmask_b32_e64 v2, 0, v2, s[6:7]
	;; [unrolled: 1-line block ×4, first 2 shown]
	v_or_b32_e32 v74, 2, v92
	v_pk_add_f32 v[0:1], v[70:71], v[0:1]
	v_pk_add_f32 v[2:3], v[68:69], v[2:3]
	v_add_u32_e32 v8, v8, v4
	v_cmp_gt_i32_e64 s[6:7], v93, v74
	v_max_f32_e32 v71, 0, v3
	v_max_f32_e32 v70, 0, v2
	;; [unrolled: 1-line block ×4, first 2 shown]
	s_and_b64 s[8:9], s[6:7], vcc
	v_lshlrev_b32_e32 v9, 2, v8
	s_mov_b64 s[14:15], exec
.LBB7_43:                               ; =>This Inner Loop Header: Depth=1
	v_readfirstlane_b32 s16, v20
	v_readfirstlane_b32 s17, v21
	;; [unrolled: 1-line block ×4, first 2 shown]
	v_cmp_eq_u64_e64 s[10:11], s[16:17], v[20:21]
	v_cmp_eq_u64_e64 s[12:13], s[18:19], v[22:23]
	s_and_b64 s[10:11], s[10:11], s[12:13]
	s_and_saveexec_b64 s[10:11], s[10:11]
	s_nop 0
	buffer_load_dwordx4 v[0:3], v9, s[16:19], 0 offen
                                        ; implicit-def: $vgpr9
	s_xor_b64 exec, exec, s[10:11]
	s_cbranch_execnz .LBB7_43
; %bb.44:
	s_mov_b64 exec, s[14:15]
	s_waitcnt vmcnt(0)
	v_cndmask_b32_e64 v3, 0, v3, s[8:9]
	v_cndmask_b32_e64 v2, 0, v2, s[8:9]
	;; [unrolled: 1-line block ×4, first 2 shown]
	v_pk_add_f32 v[0:1], v[54:55], v[0:1]
	v_pk_add_f32 v[2:3], v[52:53], v[2:3]
	v_max_f32_e32 v55, 0, v3
	v_max_f32_e32 v54, 0, v2
	;; [unrolled: 1-line block ×4, first 2 shown]
	s_and_b64 s[6:7], s[6:7], s[4:5]
	v_add_lshl_u32 v9, v8, v5, 2
	s_mov_b64 s[16:17], exec
.LBB7_45:                               ; =>This Inner Loop Header: Depth=1
	v_readfirstlane_b32 s12, v20
	v_readfirstlane_b32 s13, v21
	;; [unrolled: 1-line block ×4, first 2 shown]
	v_cmp_eq_u64_e64 s[8:9], s[12:13], v[20:21]
	v_cmp_eq_u64_e64 s[10:11], s[14:15], v[22:23]
	s_and_b64 s[8:9], s[8:9], s[10:11]
	s_and_saveexec_b64 s[8:9], s[8:9]
	s_nop 0
	buffer_load_dwordx4 v[0:3], v9, s[12:15], 0 offen
                                        ; implicit-def: $vgpr9
	s_xor_b64 exec, exec, s[8:9]
	s_cbranch_execnz .LBB7_45
; %bb.46:
	s_mov_b64 exec, s[16:17]
	s_waitcnt vmcnt(0)
	v_cndmask_b32_e64 v3, 0, v3, s[6:7]
	v_cndmask_b32_e64 v2, 0, v2, s[6:7]
	;; [unrolled: 1-line block ×4, first 2 shown]
	v_or_b32_e32 v75, 3, v92
	v_pk_add_f32 v[0:1], v[66:67], v[0:1]
	v_pk_add_f32 v[2:3], v[64:65], v[2:3]
	v_add_u32_e32 v8, v8, v4
	v_cmp_gt_i32_e64 s[6:7], v93, v75
	v_max_f32_e32 v67, 0, v3
	v_max_f32_e32 v66, 0, v2
	;; [unrolled: 1-line block ×4, first 2 shown]
	s_and_b64 s[8:9], s[6:7], vcc
	v_lshlrev_b32_e32 v9, 2, v8
	s_mov_b64 s[14:15], exec
.LBB7_47:                               ; =>This Inner Loop Header: Depth=1
	v_readfirstlane_b32 s16, v20
	v_readfirstlane_b32 s17, v21
	;; [unrolled: 1-line block ×4, first 2 shown]
	v_cmp_eq_u64_e64 s[10:11], s[16:17], v[20:21]
	v_cmp_eq_u64_e64 s[12:13], s[18:19], v[22:23]
	s_and_b64 s[10:11], s[10:11], s[12:13]
	s_and_saveexec_b64 s[10:11], s[10:11]
	s_nop 0
	buffer_load_dwordx4 v[0:3], v9, s[16:19], 0 offen
                                        ; implicit-def: $vgpr9
	s_xor_b64 exec, exec, s[10:11]
	s_cbranch_execnz .LBB7_47
; %bb.48:
	s_mov_b64 exec, s[14:15]
	s_waitcnt vmcnt(0)
	v_cndmask_b32_e64 v3, 0, v3, s[8:9]
	v_cndmask_b32_e64 v2, 0, v2, s[8:9]
	;; [unrolled: 1-line block ×4, first 2 shown]
	v_pk_add_f32 v[0:1], v[72:73], v[0:1]
	v_pk_add_f32 v[2:3], v[62:63], v[2:3]
	v_max_f32_e32 v35, 0, v3
	v_max_f32_e32 v34, 0, v2
	;; [unrolled: 1-line block ×4, first 2 shown]
	s_and_b64 s[6:7], s[6:7], s[4:5]
	v_add_lshl_u32 v9, v8, v5, 2
	s_mov_b64 s[16:17], exec
.LBB7_49:                               ; =>This Inner Loop Header: Depth=1
	v_readfirstlane_b32 s12, v20
	v_readfirstlane_b32 s13, v21
	v_readfirstlane_b32 s14, v22
	v_readfirstlane_b32 s15, v23
	v_cmp_eq_u64_e64 s[8:9], s[12:13], v[20:21]
	v_cmp_eq_u64_e64 s[10:11], s[14:15], v[22:23]
	s_and_b64 s[8:9], s[8:9], s[10:11]
	s_and_saveexec_b64 s[8:9], s[8:9]
	s_nop 0
	buffer_load_dwordx4 v[0:3], v9, s[12:15], 0 offen
                                        ; implicit-def: $vgpr9
	s_xor_b64 exec, exec, s[8:9]
	s_cbranch_execnz .LBB7_49
; %bb.50:
	s_mov_b64 exec, s[16:17]
	s_waitcnt vmcnt(0)
	v_cndmask_b32_e64 v3, 0, v3, s[6:7]
	v_cndmask_b32_e64 v2, 0, v2, s[6:7]
	;; [unrolled: 1-line block ×4, first 2 shown]
	v_add_u32_e32 v116, 64, v92
	v_mad_u64_u32 v[24:25], s[6:7], v4, 61, v[8:9]
	v_pk_add_f32 v[0:1], v[82:83], v[0:1]
	v_pk_add_f32 v[2:3], v[80:81], v[2:3]
	v_cmp_gt_i32_e64 s[6:7], v93, v116
	v_max_f32_e32 v83, 0, v3
	v_max_f32_e32 v82, 0, v2
	;; [unrolled: 1-line block ×4, first 2 shown]
	s_and_b64 s[8:9], s[6:7], vcc
	v_lshlrev_b32_e32 v8, 2, v24
	s_mov_b64 s[14:15], exec
.LBB7_51:                               ; =>This Inner Loop Header: Depth=1
	v_readfirstlane_b32 s16, v20
	v_readfirstlane_b32 s17, v21
	;; [unrolled: 1-line block ×4, first 2 shown]
	v_cmp_eq_u64_e64 s[10:11], s[16:17], v[20:21]
	v_cmp_eq_u64_e64 s[12:13], s[18:19], v[22:23]
	s_and_b64 s[10:11], s[10:11], s[12:13]
	s_and_saveexec_b64 s[10:11], s[10:11]
	s_nop 0
	buffer_load_dwordx4 v[0:3], v8, s[16:19], 0 offen
                                        ; implicit-def: $vgpr8
	s_xor_b64 exec, exec, s[10:11]
	s_cbranch_execnz .LBB7_51
; %bb.52:
	s_mov_b64 exec, s[14:15]
	s_waitcnt vmcnt(0)
	v_cndmask_b32_e64 v3, 0, v3, s[8:9]
	v_cndmask_b32_e64 v2, 0, v2, s[8:9]
	;; [unrolled: 1-line block ×4, first 2 shown]
	v_pk_add_f32 v[0:1], v[60:61], v[0:1]
	v_pk_add_f32 v[2:3], v[58:59], v[2:3]
	v_max_f32_e32 v3, 0, v3
	v_max_f32_e32 v2, 0, v2
	;; [unrolled: 1-line block ×4, first 2 shown]
	s_and_b64 s[6:7], s[6:7], s[4:5]
	v_add_lshl_u32 v12, v24, v5, 2
	s_mov_b64 s[16:17], exec
.LBB7_53:                               ; =>This Inner Loop Header: Depth=1
	v_readfirstlane_b32 s12, v20
	v_readfirstlane_b32 s13, v21
	;; [unrolled: 1-line block ×4, first 2 shown]
	v_cmp_eq_u64_e64 s[8:9], s[12:13], v[20:21]
	v_cmp_eq_u64_e64 s[10:11], s[14:15], v[22:23]
	s_and_b64 s[8:9], s[8:9], s[10:11]
	s_and_saveexec_b64 s[8:9], s[8:9]
	s_nop 0
	buffer_load_dwordx4 v[8:11], v12, s[12:15], 0 offen
                                        ; implicit-def: $vgpr12
	s_xor_b64 exec, exec, s[8:9]
	s_cbranch_execnz .LBB7_53
; %bb.54:
	s_mov_b64 exec, s[16:17]
	s_waitcnt vmcnt(0)
	v_cndmask_b32_e64 v11, 0, v11, s[6:7]
	v_cndmask_b32_e64 v10, 0, v10, s[6:7]
	;; [unrolled: 1-line block ×4, first 2 shown]
	v_pk_add_f32 v[8:9], v[56:57], v[8:9]
	v_pk_add_f32 v[10:11], v[46:47], v[10:11]
	v_add_u32_e32 v117, 0x41, v92
	v_max_f32_e32 v12, 0, v10
	v_max_f32_e32 v10, 0, v8
	v_add_u32_e32 v8, v24, v4
	v_cmp_gt_i32_e64 s[6:7], v93, v117
	v_max_f32_e32 v13, 0, v11
	v_max_f32_e32 v11, 0, v9
	s_and_b64 s[8:9], s[6:7], vcc
	v_lshlrev_b32_e32 v9, 2, v8
	s_mov_b64 s[14:15], exec
.LBB7_55:                               ; =>This Inner Loop Header: Depth=1
	v_readfirstlane_b32 s16, v20
	v_readfirstlane_b32 s17, v21
	;; [unrolled: 1-line block ×4, first 2 shown]
	v_cmp_eq_u64_e64 s[10:11], s[16:17], v[20:21]
	v_cmp_eq_u64_e64 s[12:13], s[18:19], v[22:23]
	s_and_b64 s[10:11], s[10:11], s[12:13]
	s_and_saveexec_b64 s[10:11], s[10:11]
	s_nop 0
	buffer_load_dwordx4 v[24:27], v9, s[16:19], 0 offen
                                        ; implicit-def: $vgpr9
	s_xor_b64 exec, exec, s[10:11]
	s_cbranch_execnz .LBB7_55
; %bb.56:
	s_mov_b64 exec, s[14:15]
	s_waitcnt vmcnt(0)
	v_cndmask_b32_e64 v27, 0, v27, s[8:9]
	v_cndmask_b32_e64 v26, 0, v26, s[8:9]
	v_cndmask_b32_e64 v25, 0, v25, s[8:9]
	v_cndmask_b32_e64 v24, 0, v24, s[8:9]
	v_pk_add_f32 v[24:25], v[44:45], v[24:25]
	v_pk_add_f32 v[26:27], v[42:43], v[26:27]
	v_max_f32_e32 v27, 0, v27
	v_max_f32_e32 v26, 0, v26
	;; [unrolled: 1-line block ×4, first 2 shown]
	s_and_b64 s[6:7], s[6:7], s[4:5]
	v_add_lshl_u32 v9, v8, v5, 2
	s_mov_b64 s[16:17], exec
.LBB7_57:                               ; =>This Inner Loop Header: Depth=1
	v_readfirstlane_b32 s12, v20
	v_readfirstlane_b32 s13, v21
	;; [unrolled: 1-line block ×4, first 2 shown]
	v_cmp_eq_u64_e64 s[8:9], s[12:13], v[20:21]
	v_cmp_eq_u64_e64 s[10:11], s[14:15], v[22:23]
	s_and_b64 s[8:9], s[8:9], s[10:11]
	s_and_saveexec_b64 s[8:9], s[8:9]
	s_nop 0
	buffer_load_dwordx4 v[28:31], v9, s[12:15], 0 offen
                                        ; implicit-def: $vgpr9
	s_xor_b64 exec, exec, s[8:9]
	s_cbranch_execnz .LBB7_57
; %bb.58:
	s_mov_b64 exec, s[16:17]
	s_waitcnt vmcnt(0)
	v_cndmask_b32_e64 v31, 0, v31, s[6:7]
	v_cndmask_b32_e64 v30, 0, v30, s[6:7]
	v_cndmask_b32_e64 v29, 0, v29, s[6:7]
	v_cndmask_b32_e64 v28, 0, v28, s[6:7]
	v_add_u32_e32 v42, 0x42, v92
	v_pk_add_f32 v[28:29], v[86:87], v[28:29]
	v_pk_add_f32 v[30:31], v[84:85], v[30:31]
	v_add_u32_e32 v8, v8, v4
	v_cmp_gt_i32_e64 s[6:7], v93, v42
	v_max_f32_e32 v31, 0, v31
	v_max_f32_e32 v30, 0, v30
	;; [unrolled: 1-line block ×4, first 2 shown]
	s_and_b64 s[8:9], s[6:7], vcc
	v_lshlrev_b32_e32 v9, 2, v8
	s_mov_b64 s[14:15], exec
.LBB7_59:                               ; =>This Inner Loop Header: Depth=1
	v_readfirstlane_b32 s16, v20
	v_readfirstlane_b32 s17, v21
	;; [unrolled: 1-line block ×4, first 2 shown]
	v_cmp_eq_u64_e64 s[10:11], s[16:17], v[20:21]
	v_cmp_eq_u64_e64 s[12:13], s[18:19], v[22:23]
	s_and_b64 s[10:11], s[10:11], s[12:13]
	s_and_saveexec_b64 s[10:11], s[10:11]
	s_nop 0
	buffer_load_dwordx4 v[84:87], v9, s[16:19], 0 offen
                                        ; implicit-def: $vgpr9
	s_xor_b64 exec, exec, s[10:11]
	s_cbranch_execnz .LBB7_59
; %bb.60:
	s_mov_b64 exec, s[14:15]
	s_waitcnt vmcnt(0)
	v_cndmask_b32_e64 v87, 0, v87, s[8:9]
	v_cndmask_b32_e64 v86, 0, v86, s[8:9]
	;; [unrolled: 1-line block ×4, first 2 shown]
	v_pk_add_f32 v[84:85], v[98:99], v[84:85]
	v_pk_add_f32 v[86:87], v[96:97], v[86:87]
	v_max_f32_e32 v87, 0, v87
	v_max_f32_e32 v86, 0, v86
	;; [unrolled: 1-line block ×4, first 2 shown]
	s_and_b64 s[6:7], s[6:7], s[4:5]
	v_add_lshl_u32 v9, v8, v5, 2
	s_mov_b64 s[16:17], exec
.LBB7_61:                               ; =>This Inner Loop Header: Depth=1
	v_readfirstlane_b32 s12, v20
	v_readfirstlane_b32 s13, v21
	v_readfirstlane_b32 s14, v22
	v_readfirstlane_b32 s15, v23
	v_cmp_eq_u64_e64 s[8:9], s[12:13], v[20:21]
	v_cmp_eq_u64_e64 s[10:11], s[14:15], v[22:23]
	s_and_b64 s[8:9], s[8:9], s[10:11]
	s_and_saveexec_b64 s[8:9], s[8:9]
	s_nop 0
	buffer_load_dwordx4 v[96:99], v9, s[12:15], 0 offen
                                        ; implicit-def: $vgpr9
	s_xor_b64 exec, exec, s[8:9]
	s_cbranch_execnz .LBB7_61
; %bb.62:
	s_mov_b64 exec, s[16:17]
	s_waitcnt vmcnt(0)
	v_cndmask_b32_e64 v99, 0, v99, s[6:7]
	v_cndmask_b32_e64 v98, 0, v98, s[6:7]
	;; [unrolled: 1-line block ×4, first 2 shown]
	v_add_u32_e32 v43, 0x43, v92
	v_pk_add_f32 v[96:97], v[102:103], v[96:97]
	v_pk_add_f32 v[98:99], v[100:101], v[98:99]
	v_add_u32_e32 v4, v8, v4
	v_cmp_gt_i32_e64 s[6:7], v93, v43
	v_max_f32_e32 v99, 0, v99
	v_max_f32_e32 v98, 0, v98
	;; [unrolled: 1-line block ×4, first 2 shown]
	s_and_b64 vcc, s[6:7], vcc
	v_lshlrev_b32_e32 v8, 2, v4
	s_mov_b64 s[16:17], exec
.LBB7_63:                               ; =>This Inner Loop Header: Depth=1
	v_readfirstlane_b32 s12, v20
	v_readfirstlane_b32 s13, v21
	;; [unrolled: 1-line block ×4, first 2 shown]
	v_cmp_eq_u64_e64 s[8:9], s[12:13], v[20:21]
	v_cmp_eq_u64_e64 s[10:11], s[14:15], v[22:23]
	s_and_b64 s[8:9], s[8:9], s[10:11]
	s_and_saveexec_b64 s[8:9], s[8:9]
	s_nop 0
	buffer_load_dwordx4 v[100:103], v8, s[12:15], 0 offen
                                        ; implicit-def: $vgpr8
	s_xor_b64 exec, exec, s[8:9]
	s_cbranch_execnz .LBB7_63
; %bb.64:
	s_mov_b64 exec, s[16:17]
	s_waitcnt vmcnt(0)
	v_cndmask_b32_e32 v9, 0, v103, vcc
	v_cndmask_b32_e32 v8, 0, v102, vcc
	;; [unrolled: 1-line block ×4, first 2 shown]
	v_pk_add_f32 v[100:101], v[114:115], v[100:101]
	v_pk_add_f32 v[8:9], v[112:113], v[8:9]
	v_max_f32_e32 v103, 0, v9
	v_max_f32_e32 v102, 0, v8
	;; [unrolled: 1-line block ×4, first 2 shown]
	s_and_b64 vcc, s[6:7], s[4:5]
	v_add_lshl_u32 v4, v4, v5, 2
	s_mov_b64 s[12:13], exec
.LBB7_65:                               ; =>This Inner Loop Header: Depth=1
	v_readfirstlane_b32 s8, v20
	v_readfirstlane_b32 s9, v21
	v_readfirstlane_b32 s10, v22
	v_readfirstlane_b32 s11, v23
	v_cmp_eq_u64_e64 s[4:5], s[8:9], v[20:21]
	v_cmp_eq_u64_e64 s[6:7], s[10:11], v[22:23]
	s_and_b64 s[4:5], s[4:5], s[6:7]
	s_and_saveexec_b64 s[4:5], s[4:5]
	s_nop 0
	buffer_load_dwordx4 v[112:115], v4, s[8:11], 0 offen
                                        ; implicit-def: $vgpr20_vgpr21_vgpr22_vgpr23
                                        ; implicit-def: $vgpr4
	s_xor_b64 exec, exec, s[4:5]
	s_cbranch_execnz .LBB7_65
; %bb.66:
	s_mov_b64 exec, s[12:13]
	v_accvgpr_read_b32 v9, a1
	v_accvgpr_read_b32 v8, a0
	flat_load_dwordx2 v[4:5], v[8:9] offset:8
	flat_load_dword v44, v[8:9] offset:32
	flat_load_dword v45, v[8:9] offset:20
	s_waitcnt vmcnt(0)
	v_cndmask_b32_e32 v21, 0, v115, vcc
	v_cndmask_b32_e32 v20, 0, v114, vcc
	;; [unrolled: 1-line block ×4, first 2 shown]
	v_bfrev_b32_e32 v114, 1
	v_accvgpr_read_b32 v8, a2
	v_pk_add_f32 v[112:113], v[118:119], v[22:23]
	v_pk_add_f32 v[20:21], v[40:41], v[20:21]
	v_lshlrev_b32_e32 v8, 2, v8
	v_mov_b32_e32 v9, 0x20000
	v_max_f32_e32 v23, 0, v21
	v_max_f32_e32 v22, 0, v20
	;; [unrolled: 1-line block ×4, first 2 shown]
	s_waitcnt lgkmcnt(0)
	v_mul_lo_u32 v4, v4, v92
	v_cmp_gt_i32_e32 vcc, v44, v14
	v_cmp_gt_i32_e64 s[4:5], v45, v92
	v_mad_u64_u32 v[4:5], s[6:7], v5, v14, v[4:5]
	s_and_b64 s[4:5], s[4:5], vcc
	v_cndmask_b32_e64 v5, v114, 0, s[4:5]
	v_lshl_add_u32 v5, v4, 2, v5
	s_mov_b64 s[6:7], exec
.LBB7_67:                               ; =>This Inner Loop Header: Depth=1
	v_readfirstlane_b32 s8, v6
	v_readfirstlane_b32 s9, v7
	;; [unrolled: 1-line block ×4, first 2 shown]
	v_cmp_eq_u64_e32 vcc, s[8:9], v[6:7]
	v_cmp_eq_u64_e64 s[4:5], s[10:11], v[8:9]
	s_and_b64 s[4:5], vcc, s[4:5]
	s_and_saveexec_b64 s[4:5], s[4:5]
	s_nop 0
	buffer_store_dwordx4 v[36:39], v5, s[8:11], 0 offen
                                        ; implicit-def: $vgpr36_vgpr37_vgpr38_vgpr39
                                        ; implicit-def: $vgpr5
	s_xor_b64 exec, exec, s[4:5]
	s_cbranch_execnz .LBB7_67
; %bb.68:
	s_mov_b64 exec, s[6:7]
	v_accvgpr_read_b32 v39, a1
	v_accvgpr_read_b32 v38, a0
	flat_load_dword v5, v[38:39] offset:12
	flat_load_dword v36, v[38:39] offset:32
	;; [unrolled: 1-line block ×3, first 2 shown]
	v_bfrev_b32_e32 v38, 1
	s_mov_b64 s[6:7], exec
	s_waitcnt vmcnt(0) lgkmcnt(0)
	v_lshl_add_u32 v4, v5, 6, v4
	v_cmp_gt_i32_e32 vcc, v36, v15
	v_cmp_gt_i32_e64 s[4:5], v37, v92
	s_and_b64 s[4:5], s[4:5], vcc
	v_cndmask_b32_e64 v5, v38, 0, s[4:5]
	v_lshl_add_u32 v5, v4, 2, v5
.LBB7_69:                               ; =>This Inner Loop Header: Depth=1
	v_readfirstlane_b32 s8, v6
	v_readfirstlane_b32 s9, v7
	;; [unrolled: 1-line block ×4, first 2 shown]
	v_cmp_eq_u64_e32 vcc, s[8:9], v[6:7]
	v_cmp_eq_u64_e64 s[4:5], s[10:11], v[8:9]
	s_and_b64 s[4:5], vcc, s[4:5]
	s_and_saveexec_b64 s[4:5], s[4:5]
	s_nop 0
	buffer_store_dwordx4 v[48:51], v5, s[8:11], 0 offen
                                        ; implicit-def: $vgpr48_vgpr49_vgpr50_vgpr51
                                        ; implicit-def: $vgpr5
	s_xor_b64 exec, exec, s[4:5]
	s_cbranch_execnz .LBB7_69
; %bb.70:
	s_mov_b64 exec, s[6:7]
	v_accvgpr_read_b32 v49, a1
	v_accvgpr_read_b32 v48, a0
	flat_load_dword v5, v[48:49] offset:8
	flat_load_dword v36, v[48:49] offset:32
	;; [unrolled: 1-line block ×3, first 2 shown]
	v_bfrev_b32_e32 v38, 1
	s_mov_b64 s[6:7], exec
	s_waitcnt vmcnt(0) lgkmcnt(0)
	v_add_u32_e32 v4, v5, v4
	v_cmp_gt_i32_e32 vcc, v36, v15
	v_cmp_gt_i32_e64 s[4:5], v37, v78
	s_and_b64 s[4:5], s[4:5], vcc
	v_cndmask_b32_e64 v5, v38, 0, s[4:5]
	v_lshl_add_u32 v5, v4, 2, v5
.LBB7_71:                               ; =>This Inner Loop Header: Depth=1
	v_readfirstlane_b32 s8, v6
	v_readfirstlane_b32 s9, v7
	v_readfirstlane_b32 s10, v8
	v_readfirstlane_b32 s11, v9
	v_cmp_eq_u64_e32 vcc, s[8:9], v[6:7]
	v_cmp_eq_u64_e64 s[4:5], s[10:11], v[8:9]
	s_and_b64 s[4:5], vcc, s[4:5]
	s_and_saveexec_b64 s[4:5], s[4:5]
	s_nop 0
	buffer_store_dwordx4 v[68:71], v5, s[8:11], 0 offen
                                        ; implicit-def: $vgpr68_vgpr69_vgpr70_vgpr71
                                        ; implicit-def: $vgpr5
	s_xor_b64 exec, exec, s[4:5]
	s_cbranch_execnz .LBB7_71
; %bb.72:
	s_mov_b64 exec, s[6:7]
	flat_load_dword v5, v[48:49] offset:12
	flat_load_dword v36, v[48:49] offset:32
	;; [unrolled: 1-line block ×3, first 2 shown]
	v_bfrev_b32_e32 v38, 1
	s_mov_b64 s[6:7], exec
	s_waitcnt vmcnt(0) lgkmcnt(0)
	v_lshlrev_b32_e32 v5, 6, v5
	v_cmp_gt_i32_e32 vcc, v36, v14
	v_cmp_gt_i32_e64 s[4:5], v37, v78
	s_and_b64 s[4:5], s[4:5], vcc
	v_sub_u32_e32 v4, v4, v5
	v_cndmask_b32_e64 v5, v38, 0, s[4:5]
	v_lshl_add_u32 v5, v4, 2, v5
.LBB7_73:                               ; =>This Inner Loop Header: Depth=1
	v_readfirstlane_b32 s8, v6
	v_readfirstlane_b32 s9, v7
	;; [unrolled: 1-line block ×4, first 2 shown]
	v_cmp_eq_u64_e32 vcc, s[8:9], v[6:7]
	v_cmp_eq_u64_e64 s[4:5], s[10:11], v[8:9]
	s_and_b64 s[4:5], vcc, s[4:5]
	s_and_saveexec_b64 s[4:5], s[4:5]
	s_nop 0
	buffer_store_dwordx4 v[16:19], v5, s[8:11], 0 offen
                                        ; implicit-def: $vgpr16_vgpr17_vgpr18_vgpr19
                                        ; implicit-def: $vgpr5
	s_xor_b64 exec, exec, s[4:5]
	s_cbranch_execnz .LBB7_73
; %bb.74:
	s_mov_b64 exec, s[6:7]
	flat_load_dword v5, v[48:49] offset:8
	flat_load_dword v16, v[48:49] offset:32
	flat_load_dword v17, v[48:49] offset:20
	v_bfrev_b32_e32 v18, 1
	s_mov_b64 s[6:7], exec
	s_waitcnt vmcnt(0) lgkmcnt(0)
	v_add_u32_e32 v4, v5, v4
	v_cmp_gt_i32_e32 vcc, v16, v14
	v_cmp_gt_i32_e64 s[4:5], v17, v74
	s_and_b64 s[4:5], s[4:5], vcc
	v_cndmask_b32_e64 v5, v18, 0, s[4:5]
	v_lshl_add_u32 v5, v4, 2, v5
.LBB7_75:                               ; =>This Inner Loop Header: Depth=1
	v_readfirstlane_b32 s8, v6
	v_readfirstlane_b32 s9, v7
	v_readfirstlane_b32 s10, v8
	v_readfirstlane_b32 s11, v9
	v_cmp_eq_u64_e32 vcc, s[8:9], v[6:7]
	v_cmp_eq_u64_e64 s[4:5], s[10:11], v[8:9]
	s_and_b64 s[4:5], vcc, s[4:5]
	s_and_saveexec_b64 s[4:5], s[4:5]
	s_nop 0
	buffer_store_dwordx4 v[52:55], v5, s[8:11], 0 offen
                                        ; implicit-def: $vgpr52_vgpr53_vgpr54_vgpr55
                                        ; implicit-def: $vgpr5
	s_xor_b64 exec, exec, s[4:5]
	s_cbranch_execnz .LBB7_75
; %bb.76:
	s_mov_b64 exec, s[6:7]
	flat_load_dword v5, v[48:49] offset:12
	flat_load_dword v16, v[48:49] offset:32
	;; [unrolled: 1-line block ×3, first 2 shown]
	v_bfrev_b32_e32 v18, 1
	s_mov_b64 s[6:7], exec
	s_waitcnt vmcnt(0) lgkmcnt(0)
	v_lshl_add_u32 v4, v5, 6, v4
	v_cmp_gt_i32_e32 vcc, v16, v15
	v_cmp_gt_i32_e64 s[4:5], v17, v74
	s_and_b64 s[4:5], s[4:5], vcc
	v_cndmask_b32_e64 v5, v18, 0, s[4:5]
	v_lshl_add_u32 v5, v4, 2, v5
.LBB7_77:                               ; =>This Inner Loop Header: Depth=1
	v_readfirstlane_b32 s8, v6
	v_readfirstlane_b32 s9, v7
	v_readfirstlane_b32 s10, v8
	v_readfirstlane_b32 s11, v9
	v_cmp_eq_u64_e32 vcc, s[8:9], v[6:7]
	v_cmp_eq_u64_e64 s[4:5], s[10:11], v[8:9]
	s_and_b64 s[4:5], vcc, s[4:5]
	s_and_saveexec_b64 s[4:5], s[4:5]
	s_nop 0
	buffer_store_dwordx4 v[64:67], v5, s[8:11], 0 offen
                                        ; implicit-def: $vgpr64_vgpr65_vgpr66_vgpr67
                                        ; implicit-def: $vgpr5
	s_xor_b64 exec, exec, s[4:5]
	s_cbranch_execnz .LBB7_77
; %bb.78:
	s_mov_b64 exec, s[6:7]
	flat_load_dword v5, v[48:49] offset:8
	flat_load_dword v16, v[48:49] offset:32
	flat_load_dword v17, v[48:49] offset:20
	v_bfrev_b32_e32 v18, 1
	s_mov_b64 s[6:7], exec
	s_waitcnt vmcnt(0) lgkmcnt(0)
	v_add_u32_e32 v4, v5, v4
	v_cmp_gt_i32_e32 vcc, v16, v15
	v_cmp_gt_i32_e64 s[4:5], v17, v75
	s_and_b64 s[4:5], s[4:5], vcc
	v_cndmask_b32_e64 v5, v18, 0, s[4:5]
	v_lshl_add_u32 v5, v4, 2, v5
.LBB7_79:                               ; =>This Inner Loop Header: Depth=1
	v_readfirstlane_b32 s8, v6
	v_readfirstlane_b32 s9, v7
	v_readfirstlane_b32 s10, v8
	v_readfirstlane_b32 s11, v9
	v_cmp_eq_u64_e32 vcc, s[8:9], v[6:7]
	v_cmp_eq_u64_e64 s[4:5], s[10:11], v[8:9]
	s_and_b64 s[4:5], vcc, s[4:5]
	s_and_saveexec_b64 s[4:5], s[4:5]
	s_nop 0
	buffer_store_dwordx4 v[80:83], v5, s[8:11], 0 offen
                                        ; implicit-def: $vgpr80_vgpr81_vgpr82_vgpr83
                                        ; implicit-def: $vgpr5
	s_xor_b64 exec, exec, s[4:5]
	s_cbranch_execnz .LBB7_79
; %bb.80:
	s_mov_b64 exec, s[6:7]
	flat_load_dword v5, v[48:49] offset:12
	flat_load_dword v16, v[48:49] offset:32
	;; [unrolled: 1-line block ×3, first 2 shown]
	v_bfrev_b32_e32 v18, 1
	s_mov_b64 s[6:7], exec
	s_waitcnt vmcnt(0) lgkmcnt(0)
	v_lshlrev_b32_e32 v5, 6, v5
	v_cmp_gt_i32_e32 vcc, v16, v14
	v_cmp_gt_i32_e64 s[4:5], v17, v75
	v_sub_u32_e32 v4, v4, v5
	s_and_b64 s[4:5], s[4:5], vcc
	v_cndmask_b32_e64 v5, v18, 0, s[4:5]
	v_lshlrev_b32_e32 v16, 2, v4
	v_add_u32_e32 v5, v5, v16
.LBB7_81:                               ; =>This Inner Loop Header: Depth=1
	v_readfirstlane_b32 s8, v6
	v_readfirstlane_b32 s9, v7
	;; [unrolled: 1-line block ×4, first 2 shown]
	v_cmp_eq_u64_e32 vcc, s[8:9], v[6:7]
	v_cmp_eq_u64_e64 s[4:5], s[10:11], v[8:9]
	s_and_b64 s[4:5], vcc, s[4:5]
	s_and_saveexec_b64 s[4:5], s[4:5]
	s_nop 0
	buffer_store_dwordx4 v[32:35], v5, s[8:11], 0 offen
                                        ; implicit-def: $vgpr32_vgpr33_vgpr34_vgpr35
                                        ; implicit-def: $vgpr5
	s_xor_b64 exec, exec, s[4:5]
	s_cbranch_execnz .LBB7_81
; %bb.82:
	s_mov_b64 exec, s[6:7]
	flat_load_dword v17, v[48:49] offset:32
	flat_load_dword v18, v[48:49] offset:20
	;; [unrolled: 1-line block ×3, first 2 shown]
	v_bfrev_b32_e32 v19, 1
	s_mov_b64 s[6:7], exec
	s_waitcnt vmcnt(0) lgkmcnt(0)
	v_cmp_gt_i32_e32 vcc, v17, v14
	v_cmp_gt_i32_e64 s[4:5], v18, v43
	s_and_b64 s[4:5], s[4:5], vcc
	v_lshlrev_b32_e32 v17, 8, v5
	v_cndmask_b32_e64 v18, v19, 0, s[4:5]
	v_add3_u32 v16, v17, v16, v18
.LBB7_83:                               ; =>This Inner Loop Header: Depth=1
	v_readfirstlane_b32 s8, v6
	v_readfirstlane_b32 s9, v7
	;; [unrolled: 1-line block ×4, first 2 shown]
	v_cmp_eq_u64_e32 vcc, s[8:9], v[6:7]
	v_cmp_eq_u64_e64 s[4:5], s[10:11], v[8:9]
	s_and_b64 s[4:5], vcc, s[4:5]
	s_and_saveexec_b64 s[4:5], s[4:5]
	s_nop 0
	buffer_store_dwordx4 v[100:103], v16, s[8:11], 0 offen
                                        ; implicit-def: $vgpr100_vgpr101_vgpr102_vgpr103
                                        ; implicit-def: $vgpr16
	s_xor_b64 exec, exec, s[4:5]
	s_cbranch_execnz .LBB7_83
; %bb.84:
	s_mov_b64 exec, s[6:7]
	flat_load_dword v16, v[48:49] offset:12
	flat_load_dword v17, v[48:49] offset:32
	;; [unrolled: 1-line block ×3, first 2 shown]
	v_bfrev_b32_e32 v19, 1
	s_mov_b64 s[6:7], exec
	s_waitcnt vmcnt(0) lgkmcnt(0)
	v_add_u32_e32 v5, v16, v5
	v_cmp_gt_i32_e32 vcc, v17, v15
	v_cmp_gt_i32_e64 s[4:5], v18, v43
	s_and_b64 s[4:5], s[4:5], vcc
	v_lshl_add_u32 v4, v5, 6, v4
	v_cndmask_b32_e64 v5, v19, 0, s[4:5]
	v_lshl_add_u32 v5, v4, 2, v5
.LBB7_85:                               ; =>This Inner Loop Header: Depth=1
	v_readfirstlane_b32 s8, v6
	v_readfirstlane_b32 s9, v7
	;; [unrolled: 1-line block ×4, first 2 shown]
	v_cmp_eq_u64_e32 vcc, s[8:9], v[6:7]
	v_cmp_eq_u64_e64 s[4:5], s[10:11], v[8:9]
	s_and_b64 s[4:5], vcc, s[4:5]
	s_and_saveexec_b64 s[4:5], s[4:5]
	s_nop 0
	buffer_store_dwordx4 v[20:23], v5, s[8:11], 0 offen
                                        ; implicit-def: $vgpr20_vgpr21_vgpr22_vgpr23
                                        ; implicit-def: $vgpr5
	s_xor_b64 exec, exec, s[4:5]
	s_cbranch_execnz .LBB7_85
; %bb.86:
	s_mov_b64 exec, s[6:7]
	flat_load_dword v5, v[48:49] offset:8
	flat_load_dword v16, v[48:49] offset:32
	;; [unrolled: 1-line block ×3, first 2 shown]
	v_bfrev_b32_e32 v18, 1
	s_mov_b64 s[6:7], exec
	s_waitcnt vmcnt(0) lgkmcnt(0)
	v_sub_u32_e32 v4, v4, v5
	v_cmp_gt_i32_e32 vcc, v16, v15
	v_cmp_ge_i32_e64 s[4:5], v17, v43
	s_and_b64 s[4:5], s[4:5], vcc
	v_cndmask_b32_e64 v5, v18, 0, s[4:5]
	v_lshl_add_u32 v5, v4, 2, v5
.LBB7_87:                               ; =>This Inner Loop Header: Depth=1
	v_readfirstlane_b32 s8, v6
	v_readfirstlane_b32 s9, v7
	;; [unrolled: 1-line block ×4, first 2 shown]
	v_cmp_eq_u64_e32 vcc, s[8:9], v[6:7]
	v_cmp_eq_u64_e64 s[4:5], s[10:11], v[8:9]
	s_and_b64 s[4:5], vcc, s[4:5]
	s_and_saveexec_b64 s[4:5], s[4:5]
	s_nop 0
	buffer_store_dwordx4 v[96:99], v5, s[8:11], 0 offen
                                        ; implicit-def: $vgpr96_vgpr97_vgpr98_vgpr99
                                        ; implicit-def: $vgpr5
	s_xor_b64 exec, exec, s[4:5]
	s_cbranch_execnz .LBB7_87
; %bb.88:
	s_mov_b64 exec, s[6:7]
	flat_load_dword v5, v[48:49] offset:12
	flat_load_dword v16, v[48:49] offset:32
	;; [unrolled: 1-line block ×3, first 2 shown]
	v_bfrev_b32_e32 v18, 1
	s_mov_b64 s[6:7], exec
	s_waitcnt vmcnt(0) lgkmcnt(0)
	v_lshlrev_b32_e32 v5, 6, v5
	v_cmp_gt_i32_e32 vcc, v16, v14
	v_cmp_gt_i32_e64 s[4:5], v17, v42
	s_and_b64 s[4:5], s[4:5], vcc
	v_sub_u32_e32 v4, v4, v5
	v_cndmask_b32_e64 v5, v18, 0, s[4:5]
	v_lshl_add_u32 v5, v4, 2, v5
.LBB7_89:                               ; =>This Inner Loop Header: Depth=1
	v_readfirstlane_b32 s8, v6
	v_readfirstlane_b32 s9, v7
	;; [unrolled: 1-line block ×4, first 2 shown]
	v_cmp_eq_u64_e32 vcc, s[8:9], v[6:7]
	v_cmp_eq_u64_e64 s[4:5], s[10:11], v[8:9]
	s_and_b64 s[4:5], vcc, s[4:5]
	s_and_saveexec_b64 s[4:5], s[4:5]
	s_nop 0
	buffer_store_dwordx4 v[84:87], v5, s[8:11], 0 offen
                                        ; implicit-def: $vgpr84_vgpr85_vgpr86_vgpr87
                                        ; implicit-def: $vgpr5
	s_xor_b64 exec, exec, s[4:5]
	s_cbranch_execnz .LBB7_89
; %bb.90:
	s_mov_b64 exec, s[6:7]
	flat_load_dword v5, v[48:49] offset:8
	flat_load_dword v16, v[48:49] offset:32
	;; [unrolled: 1-line block ×3, first 2 shown]
	v_bfrev_b32_e32 v18, 1
	s_mov_b64 s[6:7], exec
	s_waitcnt vmcnt(0) lgkmcnt(0)
	v_sub_u32_e32 v4, v4, v5
	v_cmp_gt_i32_e32 vcc, v16, v14
	v_cmp_ge_i32_e64 s[4:5], v17, v42
	s_and_b64 s[4:5], s[4:5], vcc
	v_cndmask_b32_e64 v5, v18, 0, s[4:5]
	v_lshl_add_u32 v5, v4, 2, v5
.LBB7_91:                               ; =>This Inner Loop Header: Depth=1
	v_readfirstlane_b32 s8, v6
	v_readfirstlane_b32 s9, v7
	;; [unrolled: 1-line block ×4, first 2 shown]
	v_cmp_eq_u64_e32 vcc, s[8:9], v[6:7]
	v_cmp_eq_u64_e64 s[4:5], s[10:11], v[8:9]
	s_and_b64 s[4:5], vcc, s[4:5]
	s_and_saveexec_b64 s[4:5], s[4:5]
	s_nop 0
	buffer_store_dwordx4 v[24:27], v5, s[8:11], 0 offen
                                        ; implicit-def: $vgpr24_vgpr25_vgpr26_vgpr27
                                        ; implicit-def: $vgpr5
	s_xor_b64 exec, exec, s[4:5]
	s_cbranch_execnz .LBB7_91
; %bb.92:
	s_mov_b64 exec, s[6:7]
	flat_load_dword v5, v[48:49] offset:12
	flat_load_dword v16, v[48:49] offset:32
	;; [unrolled: 1-line block ×3, first 2 shown]
	v_bfrev_b32_e32 v18, 1
	s_mov_b64 s[6:7], exec
	s_waitcnt vmcnt(0) lgkmcnt(0)
	v_lshl_add_u32 v4, v5, 6, v4
	v_cmp_gt_i32_e32 vcc, v16, v15
	v_cmp_gt_i32_e64 s[4:5], v17, v117
	s_and_b64 s[4:5], s[4:5], vcc
	v_cndmask_b32_e64 v5, v18, 0, s[4:5]
	v_lshl_add_u32 v5, v4, 2, v5
.LBB7_93:                               ; =>This Inner Loop Header: Depth=1
	v_readfirstlane_b32 s8, v6
	v_readfirstlane_b32 s9, v7
	v_readfirstlane_b32 s10, v8
	v_readfirstlane_b32 s11, v9
	v_cmp_eq_u64_e32 vcc, s[8:9], v[6:7]
	v_cmp_eq_u64_e64 s[4:5], s[10:11], v[8:9]
	s_and_b64 s[4:5], vcc, s[4:5]
	s_and_saveexec_b64 s[4:5], s[4:5]
	s_nop 0
	buffer_store_dwordx4 v[28:31], v5, s[8:11], 0 offen
                                        ; implicit-def: $vgpr28_vgpr29_vgpr30_vgpr31
                                        ; implicit-def: $vgpr5
	s_xor_b64 exec, exec, s[4:5]
	s_cbranch_execnz .LBB7_93
; %bb.94:
	s_mov_b64 exec, s[6:7]
	flat_load_dword v5, v[48:49] offset:8
	flat_load_dword v16, v[48:49] offset:32
	;; [unrolled: 1-line block ×3, first 2 shown]
	v_bfrev_b32_e32 v18, 1
	s_mov_b64 s[6:7], exec
	s_waitcnt vmcnt(0) lgkmcnt(0)
	v_sub_u32_e32 v4, v4, v5
	v_cmp_gt_i32_e32 vcc, v16, v15
	v_cmp_ge_i32_e64 s[4:5], v17, v117
	s_and_b64 s[4:5], s[4:5], vcc
	v_lshlrev_b32_e32 v4, 2, v4
	v_cndmask_b32_e64 v5, v18, 0, s[4:5]
	v_add_u32_e32 v5, v5, v4
.LBB7_95:                               ; =>This Inner Loop Header: Depth=1
	v_readfirstlane_b32 s8, v6
	v_readfirstlane_b32 s9, v7
	;; [unrolled: 1-line block ×4, first 2 shown]
	v_cmp_eq_u64_e32 vcc, s[8:9], v[6:7]
	v_cmp_eq_u64_e64 s[4:5], s[10:11], v[8:9]
	s_and_b64 s[4:5], vcc, s[4:5]
	s_and_saveexec_b64 s[4:5], s[4:5]
	s_nop 0
	buffer_store_dwordx4 v[10:13], v5, s[8:11], 0 offen
                                        ; implicit-def: $vgpr10_vgpr11_vgpr12_vgpr13
                                        ; implicit-def: $vgpr5
	s_xor_b64 exec, exec, s[4:5]
	s_cbranch_execnz .LBB7_95
; %bb.96:
	s_mov_b64 exec, s[6:7]
	flat_load_dword v5, v[48:49] offset:32
	flat_load_dword v10, v[48:49] offset:20
	;; [unrolled: 1-line block ×3, first 2 shown]
	v_bfrev_b32_e32 v12, 1
	s_mov_b64 s[6:7], exec
	s_waitcnt vmcnt(0) lgkmcnt(0)
	v_cmp_gt_i32_e32 vcc, v5, v14
	v_cmp_gt_i32_e64 s[4:5], v10, v116
	v_lshlrev_b32_e32 v5, 8, v11
	s_and_b64 s[4:5], s[4:5], vcc
	v_sub_u32_e32 v4, v4, v5
	v_cndmask_b32_e64 v5, v12, 0, s[4:5]
	v_add_u32_e32 v4, v4, v5
.LBB7_97:                               ; =>This Inner Loop Header: Depth=1
	v_readfirstlane_b32 s8, v6
	v_readfirstlane_b32 s9, v7
	;; [unrolled: 1-line block ×4, first 2 shown]
	v_cmp_eq_u64_e32 vcc, s[8:9], v[6:7]
	v_cmp_eq_u64_e64 s[4:5], s[10:11], v[8:9]
	s_and_b64 s[4:5], vcc, s[4:5]
	s_and_saveexec_b64 s[4:5], s[4:5]
	s_nop 0
	buffer_store_dwordx4 v[0:3], v4, s[8:11], 0 offen
                                        ; implicit-def: $vgpr6_vgpr7_vgpr8_vgpr9
                                        ; implicit-def: $vgpr0_vgpr1_vgpr2_vgpr3
                                        ; implicit-def: $vgpr4
	s_xor_b64 exec, exec, s[4:5]
	s_cbranch_execnz .LBB7_97
; %bb.98:
	s_mov_b64 exec, s[6:7]
	s_waitcnt vmcnt(0)
	s_setpc_b64 s[30:31]
.Lfunc_end7:
	.size	_ZN2ck32GridwiseGemmDlMultipleD_km_kn_mnILi256EffNS_5TupleIJfEEEfNS_16tensor_operation12element_wise11PassThroughES5_NS4_7AddReluELNS_25InMemoryDataOperationEnumE0ENS_16TensorDescriptorINS1_IJNS_5EmbedINS1_IJiiiiEEESA_Lb0EEENS_11PassThroughIiEENS_3PadIiiiLb0EEESF_SD_SD_NS9_INS1_IJiiEEESG_Lb0EEESH_SD_NS_23Merge_v2_magic_divisionINS1_IJiiiEEEEESK_NS_8RightPadIiiLb0EEESM_NS_7UnMergeISG_Lb0EEESD_EEENS1_IJNS_8SequenceIJLi0EEEENSQ_IJLi1EEEENSQ_IJLi2EEEENSQ_IJLi3EEEENSQ_IJLi4EEEENSQ_IJLi5EEEENSQ_IJLi6EEEENSQ_IJLi7EEEENSQ_IJLi8EEEENSQ_IJLi9ELi11ELi13EEEENSQ_IJLi10ELi12ELi14EEEENSQ_IJLi15EEEENSQ_IJLi16EEEENSQ_IJLi18EEEENSQ_IJLi17EEEEEEENS1_IJNSQ_IJLi1ELi2ELi3ELi4EEEESW_SX_SY_SZ_NSQ_IJLi9EEEENSQ_IJLi10ELi11EEEENSQ_IJLi12ELi13EEEENSQ_IJLi14EEEES12_S13_S15_S14_NSQ_IJLi19ELi20EEEENSQ_IJLi21EEEEEEENSQ_IJLi19ELi21ELi20EEEElEENS8_INS1_IJSO_SM_SM_SO_SD_EEENS1_IJSR_SS_ST_SV_SU_EEENS1_IJNSQ_IJLi1ELi2EEEESU_SV_NSQ_IJLi5ELi6EEEESY_EEENSQ_IJLi5ELi7ELi6EEEElEENS8_INS1_IJSH_SM_SM_EEENS1_IJSR_SS_ST_EEENS1_IJS1J_SU_SV_EEENSQ_IJLi3ELi4EEEElEELi128ELi128ELi16ELi1ELi4ELi4ELi1ENSQ_IJLi8ELi2EEEES1T_NSQ_IJLi8ELi1ELi1ELi1EEEENSQ_IJLi2ELi1ELi128ELi1EEEENSQ_IJLi1ELi2ELi0ELi3EEEES1W_NSQ_IJLi4ELi1ELi1ELi1EEEES1W_NSQ_IJLi1ELi1ELi1ELi1EEEES1U_S1V_S1W_S1W_S1X_S1W_S1Y_NSQ_IJLi0ELi1ELi2ELi3ELi4ELi5EEEELi5ELi4EE3RunINS1_IJNS8_INS1_IJSH_SM_SM_NSN_INS1_IJiNS_17integral_constantIiLi2EEENS22_IiLi64EEEEEELb0EEES26_EEENS1_IJSR_SS_ST_SU_SV_EEENS1_IJS1J_SU_SV_NSQ_IJLi5ELi6ELi7EEEENSQ_IJLi8ELi9ELi10EEEEEEENSQ_IJLi5ELi6ELi7ELi8ELi9ELi10EEEElEEEEELb1ELb1ENS_31BlockToCTileMap_M00_N00_M01_N01ILi128ELi128ES1S_Lb0EEEEEvPKfS2I_NS1_IJS2I_EEEPfPvRKS5_S2N_RKS6_RKNS8_INS1_IJSB_SD_SF_SF_SD_SD_SH_SH_SD_SK_SK_SM_SM_SO_SD_SD_NSN_INS1_IJiNS22_IiLi128EEEEEELb0EEENSC_INS22_IiLi1EEEEEEEENS1_IJSR_SS_ST_SU_SV_SW_SX_SY_SZ_S10_S11_S12_S13_S14_S15_NSQ_IJLi19EEEES1D_NSQ_IJLi20EEEEEEENS1_IJS17_SW_SX_SY_SZ_S18_S19_S1A_S1B_S12_S13_S15_S14_S1C_S1D_NSQ_IJLi22EEEENSQ_IJLi23ELi24EEEENSQ_IJLi25EEEEEEENSQ_IJLi22ELi23ELi24ELi25EEEElEERKNS8_INS1_IJSO_SM_SM_SO_SD_SD_S2S_S2U_EEENS1_IJSR_SS_ST_SV_SU_SW_SY_SX_EEENS1_IJS1J_SU_SV_S1K_SY_SZ_NSQ_IJLi9ELi10EEEENSQ_IJLi11EEEEEEENSQ_IJLi8ELi9ELi10ELi11EEEElEERKT_RKS2D_RKT2_NS22_IbXT0_EEENS22_IbXT1_EEE, .Lfunc_end7-_ZN2ck32GridwiseGemmDlMultipleD_km_kn_mnILi256EffNS_5TupleIJfEEEfNS_16tensor_operation12element_wise11PassThroughES5_NS4_7AddReluELNS_25InMemoryDataOperationEnumE0ENS_16TensorDescriptorINS1_IJNS_5EmbedINS1_IJiiiiEEESA_Lb0EEENS_11PassThroughIiEENS_3PadIiiiLb0EEESF_SD_SD_NS9_INS1_IJiiEEESG_Lb0EEESH_SD_NS_23Merge_v2_magic_divisionINS1_IJiiiEEEEESK_NS_8RightPadIiiLb0EEESM_NS_7UnMergeISG_Lb0EEESD_EEENS1_IJNS_8SequenceIJLi0EEEENSQ_IJLi1EEEENSQ_IJLi2EEEENSQ_IJLi3EEEENSQ_IJLi4EEEENSQ_IJLi5EEEENSQ_IJLi6EEEENSQ_IJLi7EEEENSQ_IJLi8EEEENSQ_IJLi9ELi11ELi13EEEENSQ_IJLi10ELi12ELi14EEEENSQ_IJLi15EEEENSQ_IJLi16EEEENSQ_IJLi18EEEENSQ_IJLi17EEEEEEENS1_IJNSQ_IJLi1ELi2ELi3ELi4EEEESW_SX_SY_SZ_NSQ_IJLi9EEEENSQ_IJLi10ELi11EEEENSQ_IJLi12ELi13EEEENSQ_IJLi14EEEES12_S13_S15_S14_NSQ_IJLi19ELi20EEEENSQ_IJLi21EEEEEEENSQ_IJLi19ELi21ELi20EEEElEENS8_INS1_IJSO_SM_SM_SO_SD_EEENS1_IJSR_SS_ST_SV_SU_EEENS1_IJNSQ_IJLi1ELi2EEEESU_SV_NSQ_IJLi5ELi6EEEESY_EEENSQ_IJLi5ELi7ELi6EEEElEENS8_INS1_IJSH_SM_SM_EEENS1_IJSR_SS_ST_EEENS1_IJS1J_SU_SV_EEENSQ_IJLi3ELi4EEEElEELi128ELi128ELi16ELi1ELi4ELi4ELi1ENSQ_IJLi8ELi2EEEES1T_NSQ_IJLi8ELi1ELi1ELi1EEEENSQ_IJLi2ELi1ELi128ELi1EEEENSQ_IJLi1ELi2ELi0ELi3EEEES1W_NSQ_IJLi4ELi1ELi1ELi1EEEES1W_NSQ_IJLi1ELi1ELi1ELi1EEEES1U_S1V_S1W_S1W_S1X_S1W_S1Y_NSQ_IJLi0ELi1ELi2ELi3ELi4ELi5EEEELi5ELi4EE3RunINS1_IJNS8_INS1_IJSH_SM_SM_NSN_INS1_IJiNS_17integral_constantIiLi2EEENS22_IiLi64EEEEEELb0EEES26_EEENS1_IJSR_SS_ST_SU_SV_EEENS1_IJS1J_SU_SV_NSQ_IJLi5ELi6ELi7EEEENSQ_IJLi8ELi9ELi10EEEEEEENSQ_IJLi5ELi6ELi7ELi8ELi9ELi10EEEElEEEEELb1ELb1ENS_31BlockToCTileMap_M00_N00_M01_N01ILi128ELi128ES1S_Lb0EEEEEvPKfS2I_NS1_IJS2I_EEEPfPvRKS5_S2N_RKS6_RKNS8_INS1_IJSB_SD_SF_SF_SD_SD_SH_SH_SD_SK_SK_SM_SM_SO_SD_SD_NSN_INS1_IJiNS22_IiLi128EEEEEELb0EEENSC_INS22_IiLi1EEEEEEEENS1_IJSR_SS_ST_SU_SV_SW_SX_SY_SZ_S10_S11_S12_S13_S14_S15_NSQ_IJLi19EEEES1D_NSQ_IJLi20EEEEEEENS1_IJS17_SW_SX_SY_SZ_S18_S19_S1A_S1B_S12_S13_S15_S14_S1C_S1D_NSQ_IJLi22EEEENSQ_IJLi23ELi24EEEENSQ_IJLi25EEEEEEENSQ_IJLi22ELi23ELi24ELi25EEEElEERKNS8_INS1_IJSO_SM_SM_SO_SD_SD_S2S_S2U_EEENS1_IJSR_SS_ST_SV_SU_SW_SY_SX_EEENS1_IJS1J_SU_SV_S1K_SY_SZ_NSQ_IJLi9ELi10EEEENSQ_IJLi11EEEEEEENSQ_IJLi8ELi9ELi10ELi11EEEElEERKT_RKS2D_RKT2_NS22_IbXT0_EEENS22_IbXT1_EEE
                                        ; -- End function
	.section	.AMDGPU.csdata,"",@progbits
; Function info:
; codeLenInByte = 45744
; NumSgprs: 36
; NumVgprs: 128
; NumAgprs: 14
; TotalNumVgprs: 142
; ScratchSize: 0
; MemoryBound: 0
	.section	.text._ZN2ck16tensor_operation6device12_GLOBAL__N_137kernel_grouped_conv_fwd_dl_multiple_dINS_32GridwiseGemmDlMultipleD_km_kn_mnILi256EffNS_5TupleIJfEEEfNS0_12element_wise11PassThroughES8_NS7_7AddReluELNS_25InMemoryDataOperationEnumE0ENS_16TensorDescriptorINS5_IJNS_5EmbedINS5_IJiiiiEEESD_Lb0EEENS_11PassThroughIiEENS_3PadIiiiLb0EEESI_SG_SG_NSC_INS5_IJiiEEESJ_Lb0EEESK_SG_NS_23Merge_v2_magic_divisionINS5_IJiiiEEEEESN_NS_8RightPadIiiLb0EEESP_NS_7UnMergeISJ_Lb0EEESG_EEENS5_IJNS_8SequenceIJLi0EEEENST_IJLi1EEEENST_IJLi2EEEENST_IJLi3EEEENST_IJLi4EEEENST_IJLi5EEEENST_IJLi6EEEENST_IJLi7EEEENST_IJLi8EEEENST_IJLi9ELi11ELi13EEEENST_IJLi10ELi12ELi14EEEENST_IJLi15EEEENST_IJLi16EEEENST_IJLi18EEEENST_IJLi17EEEEEEENS5_IJNST_IJLi1ELi2ELi3ELi4EEEESZ_S10_S11_S12_NST_IJLi9EEEENST_IJLi10ELi11EEEENST_IJLi12ELi13EEEENST_IJLi14EEEES15_S16_S18_S17_NST_IJLi19ELi20EEEENST_IJLi21EEEEEEENST_IJLi19ELi21ELi20EEEElEENSB_INS5_IJSR_SP_SP_SR_SG_EEENS5_IJSU_SV_SW_SY_SX_EEENS5_IJNST_IJLi1ELi2EEEESX_SY_NST_IJLi5ELi6EEEES11_EEENST_IJLi5ELi7ELi6EEEElEENSB_INS5_IJSK_SP_SP_EEENS5_IJSU_SV_SW_EEENS5_IJS1M_SX_SY_EEENST_IJLi3ELi4EEEElEELi128ELi128ELi16ELi1ELi4ELi4ELi1ENST_IJLi8ELi2EEEES1W_NST_IJLi8ELi1ELi1ELi1EEEENST_IJLi2ELi1ELi128ELi1EEEENST_IJLi1ELi2ELi0ELi3EEEES1Z_NST_IJLi4ELi1ELi1ELi1EEEES1Z_NST_IJLi1ELi1ELi1ELi1EEEES1X_S1Y_S1Z_S1Z_S20_S1Z_S21_NST_IJLi0ELi1ELi2ELi3ELi4ELi5EEEELi5ELi4EEEfNS5_IJPKfEEEfS8_S8_S9_NSB_INS5_IJSE_SG_SI_SI_SG_SG_SK_SK_SG_SN_SN_SP_SP_SR_SG_SG_NSQ_INS5_IJiNS_17integral_constantIiLi128EEEEEELb0EEENSF_INS27_IiLi1EEEEEEEENS5_IJSU_SV_SW_SX_SY_SZ_S10_S11_S12_S13_S14_S15_S16_S17_S18_NST_IJLi19EEEES1G_NST_IJLi20EEEEEEENS5_IJS1A_SZ_S10_S11_S12_S1B_S1C_S1D_S1E_S15_S16_S18_S17_S1F_S1G_NST_IJLi22EEEENST_IJLi23ELi24EEEENST_IJLi25EEEEEEENST_IJLi22ELi23ELi24ELi25EEEElEENSB_INS5_IJSR_SP_SP_SR_SG_SG_S2A_S2C_EEENS5_IJSU_SV_SW_SY_SX_SZ_S11_S10_EEENS5_IJS1M_SX_SY_S1N_S11_S12_NST_IJLi9ELi10EEEENST_IJLi11EEEEEEENST_IJLi8ELi9ELi10ELi11EEEElEENS5_IJNSB_INS5_IJSK_SP_SP_NSQ_INS5_IJiNS27_IiLi2EEENS27_IiLi64EEEEEELb0EEES2X_EEENS5_IJSU_SV_SW_SX_SY_EEENS5_IJS1M_SX_SY_NST_IJLi5ELi6ELi7EEEENST_IJLi8ELi9ELi10EEEEEEENST_IJLi5ELi6ELi7ELi8ELi9ELi10EEEElEEEEES34_NS_31BlockToCTileMap_M00_N00_M01_N01ILi128ELi128ES1V_Lb0EEENS1_30ComputePtrOffsetOfStridedBatchILi1ELi1ELi1EvEELb1ELb1EEEvPKT0_S3C_T1_PT2_T3_T4_T5_iT6_T7_T8_T9_T10_T11_,"axG",@progbits,_ZN2ck16tensor_operation6device12_GLOBAL__N_137kernel_grouped_conv_fwd_dl_multiple_dINS_32GridwiseGemmDlMultipleD_km_kn_mnILi256EffNS_5TupleIJfEEEfNS0_12element_wise11PassThroughES8_NS7_7AddReluELNS_25InMemoryDataOperationEnumE0ENS_16TensorDescriptorINS5_IJNS_5EmbedINS5_IJiiiiEEESD_Lb0EEENS_11PassThroughIiEENS_3PadIiiiLb0EEESI_SG_SG_NSC_INS5_IJiiEEESJ_Lb0EEESK_SG_NS_23Merge_v2_magic_divisionINS5_IJiiiEEEEESN_NS_8RightPadIiiLb0EEESP_NS_7UnMergeISJ_Lb0EEESG_EEENS5_IJNS_8SequenceIJLi0EEEENST_IJLi1EEEENST_IJLi2EEEENST_IJLi3EEEENST_IJLi4EEEENST_IJLi5EEEENST_IJLi6EEEENST_IJLi7EEEENST_IJLi8EEEENST_IJLi9ELi11ELi13EEEENST_IJLi10ELi12ELi14EEEENST_IJLi15EEEENST_IJLi16EEEENST_IJLi18EEEENST_IJLi17EEEEEEENS5_IJNST_IJLi1ELi2ELi3ELi4EEEESZ_S10_S11_S12_NST_IJLi9EEEENST_IJLi10ELi11EEEENST_IJLi12ELi13EEEENST_IJLi14EEEES15_S16_S18_S17_NST_IJLi19ELi20EEEENST_IJLi21EEEEEEENST_IJLi19ELi21ELi20EEEElEENSB_INS5_IJSR_SP_SP_SR_SG_EEENS5_IJSU_SV_SW_SY_SX_EEENS5_IJNST_IJLi1ELi2EEEESX_SY_NST_IJLi5ELi6EEEES11_EEENST_IJLi5ELi7ELi6EEEElEENSB_INS5_IJSK_SP_SP_EEENS5_IJSU_SV_SW_EEENS5_IJS1M_SX_SY_EEENST_IJLi3ELi4EEEElEELi128ELi128ELi16ELi1ELi4ELi4ELi1ENST_IJLi8ELi2EEEES1W_NST_IJLi8ELi1ELi1ELi1EEEENST_IJLi2ELi1ELi128ELi1EEEENST_IJLi1ELi2ELi0ELi3EEEES1Z_NST_IJLi4ELi1ELi1ELi1EEEES1Z_NST_IJLi1ELi1ELi1ELi1EEEES1X_S1Y_S1Z_S1Z_S20_S1Z_S21_NST_IJLi0ELi1ELi2ELi3ELi4ELi5EEEELi5ELi4EEEfNS5_IJPKfEEEfS8_S8_S9_NSB_INS5_IJSE_SG_SI_SI_SG_SG_SK_SK_SG_SN_SN_SP_SP_SR_SG_SG_NSQ_INS5_IJiNS_17integral_constantIiLi128EEEEEELb0EEENSF_INS27_IiLi1EEEEEEEENS5_IJSU_SV_SW_SX_SY_SZ_S10_S11_S12_S13_S14_S15_S16_S17_S18_NST_IJLi19EEEES1G_NST_IJLi20EEEEEEENS5_IJS1A_SZ_S10_S11_S12_S1B_S1C_S1D_S1E_S15_S16_S18_S17_S1F_S1G_NST_IJLi22EEEENST_IJLi23ELi24EEEENST_IJLi25EEEEEEENST_IJLi22ELi23ELi24ELi25EEEElEENSB_INS5_IJSR_SP_SP_SR_SG_SG_S2A_S2C_EEENS5_IJSU_SV_SW_SY_SX_SZ_S11_S10_EEENS5_IJS1M_SX_SY_S1N_S11_S12_NST_IJLi9ELi10EEEENST_IJLi11EEEEEEENST_IJLi8ELi9ELi10ELi11EEEElEENS5_IJNSB_INS5_IJSK_SP_SP_NSQ_INS5_IJiNS27_IiLi2EEENS27_IiLi64EEEEEELb0EEES2X_EEENS5_IJSU_SV_SW_SX_SY_EEENS5_IJS1M_SX_SY_NST_IJLi5ELi6ELi7EEEENST_IJLi8ELi9ELi10EEEEEEENST_IJLi5ELi6ELi7ELi8ELi9ELi10EEEElEEEEES34_NS_31BlockToCTileMap_M00_N00_M01_N01ILi128ELi128ES1V_Lb0EEENS1_30ComputePtrOffsetOfStridedBatchILi1ELi1ELi1EvEELb1ELb1EEEvPKT0_S3C_T1_PT2_T3_T4_T5_iT6_T7_T8_T9_T10_T11_,comdat
	.globl	_ZN2ck16tensor_operation6device12_GLOBAL__N_137kernel_grouped_conv_fwd_dl_multiple_dINS_32GridwiseGemmDlMultipleD_km_kn_mnILi256EffNS_5TupleIJfEEEfNS0_12element_wise11PassThroughES8_NS7_7AddReluELNS_25InMemoryDataOperationEnumE0ENS_16TensorDescriptorINS5_IJNS_5EmbedINS5_IJiiiiEEESD_Lb0EEENS_11PassThroughIiEENS_3PadIiiiLb0EEESI_SG_SG_NSC_INS5_IJiiEEESJ_Lb0EEESK_SG_NS_23Merge_v2_magic_divisionINS5_IJiiiEEEEESN_NS_8RightPadIiiLb0EEESP_NS_7UnMergeISJ_Lb0EEESG_EEENS5_IJNS_8SequenceIJLi0EEEENST_IJLi1EEEENST_IJLi2EEEENST_IJLi3EEEENST_IJLi4EEEENST_IJLi5EEEENST_IJLi6EEEENST_IJLi7EEEENST_IJLi8EEEENST_IJLi9ELi11ELi13EEEENST_IJLi10ELi12ELi14EEEENST_IJLi15EEEENST_IJLi16EEEENST_IJLi18EEEENST_IJLi17EEEEEEENS5_IJNST_IJLi1ELi2ELi3ELi4EEEESZ_S10_S11_S12_NST_IJLi9EEEENST_IJLi10ELi11EEEENST_IJLi12ELi13EEEENST_IJLi14EEEES15_S16_S18_S17_NST_IJLi19ELi20EEEENST_IJLi21EEEEEEENST_IJLi19ELi21ELi20EEEElEENSB_INS5_IJSR_SP_SP_SR_SG_EEENS5_IJSU_SV_SW_SY_SX_EEENS5_IJNST_IJLi1ELi2EEEESX_SY_NST_IJLi5ELi6EEEES11_EEENST_IJLi5ELi7ELi6EEEElEENSB_INS5_IJSK_SP_SP_EEENS5_IJSU_SV_SW_EEENS5_IJS1M_SX_SY_EEENST_IJLi3ELi4EEEElEELi128ELi128ELi16ELi1ELi4ELi4ELi1ENST_IJLi8ELi2EEEES1W_NST_IJLi8ELi1ELi1ELi1EEEENST_IJLi2ELi1ELi128ELi1EEEENST_IJLi1ELi2ELi0ELi3EEEES1Z_NST_IJLi4ELi1ELi1ELi1EEEES1Z_NST_IJLi1ELi1ELi1ELi1EEEES1X_S1Y_S1Z_S1Z_S20_S1Z_S21_NST_IJLi0ELi1ELi2ELi3ELi4ELi5EEEELi5ELi4EEEfNS5_IJPKfEEEfS8_S8_S9_NSB_INS5_IJSE_SG_SI_SI_SG_SG_SK_SK_SG_SN_SN_SP_SP_SR_SG_SG_NSQ_INS5_IJiNS_17integral_constantIiLi128EEEEEELb0EEENSF_INS27_IiLi1EEEEEEEENS5_IJSU_SV_SW_SX_SY_SZ_S10_S11_S12_S13_S14_S15_S16_S17_S18_NST_IJLi19EEEES1G_NST_IJLi20EEEEEEENS5_IJS1A_SZ_S10_S11_S12_S1B_S1C_S1D_S1E_S15_S16_S18_S17_S1F_S1G_NST_IJLi22EEEENST_IJLi23ELi24EEEENST_IJLi25EEEEEEENST_IJLi22ELi23ELi24ELi25EEEElEENSB_INS5_IJSR_SP_SP_SR_SG_SG_S2A_S2C_EEENS5_IJSU_SV_SW_SY_SX_SZ_S11_S10_EEENS5_IJS1M_SX_SY_S1N_S11_S12_NST_IJLi9ELi10EEEENST_IJLi11EEEEEEENST_IJLi8ELi9ELi10ELi11EEEElEENS5_IJNSB_INS5_IJSK_SP_SP_NSQ_INS5_IJiNS27_IiLi2EEENS27_IiLi64EEEEEELb0EEES2X_EEENS5_IJSU_SV_SW_SX_SY_EEENS5_IJS1M_SX_SY_NST_IJLi5ELi6ELi7EEEENST_IJLi8ELi9ELi10EEEEEEENST_IJLi5ELi6ELi7ELi8ELi9ELi10EEEElEEEEES34_NS_31BlockToCTileMap_M00_N00_M01_N01ILi128ELi128ES1V_Lb0EEENS1_30ComputePtrOffsetOfStridedBatchILi1ELi1ELi1EvEELb1ELb1EEEvPKT0_S3C_T1_PT2_T3_T4_T5_iT6_T7_T8_T9_T10_T11_ ; -- Begin function _ZN2ck16tensor_operation6device12_GLOBAL__N_137kernel_grouped_conv_fwd_dl_multiple_dINS_32GridwiseGemmDlMultipleD_km_kn_mnILi256EffNS_5TupleIJfEEEfNS0_12element_wise11PassThroughES8_NS7_7AddReluELNS_25InMemoryDataOperationEnumE0ENS_16TensorDescriptorINS5_IJNS_5EmbedINS5_IJiiiiEEESD_Lb0EEENS_11PassThroughIiEENS_3PadIiiiLb0EEESI_SG_SG_NSC_INS5_IJiiEEESJ_Lb0EEESK_SG_NS_23Merge_v2_magic_divisionINS5_IJiiiEEEEESN_NS_8RightPadIiiLb0EEESP_NS_7UnMergeISJ_Lb0EEESG_EEENS5_IJNS_8SequenceIJLi0EEEENST_IJLi1EEEENST_IJLi2EEEENST_IJLi3EEEENST_IJLi4EEEENST_IJLi5EEEENST_IJLi6EEEENST_IJLi7EEEENST_IJLi8EEEENST_IJLi9ELi11ELi13EEEENST_IJLi10ELi12ELi14EEEENST_IJLi15EEEENST_IJLi16EEEENST_IJLi18EEEENST_IJLi17EEEEEEENS5_IJNST_IJLi1ELi2ELi3ELi4EEEESZ_S10_S11_S12_NST_IJLi9EEEENST_IJLi10ELi11EEEENST_IJLi12ELi13EEEENST_IJLi14EEEES15_S16_S18_S17_NST_IJLi19ELi20EEEENST_IJLi21EEEEEEENST_IJLi19ELi21ELi20EEEElEENSB_INS5_IJSR_SP_SP_SR_SG_EEENS5_IJSU_SV_SW_SY_SX_EEENS5_IJNST_IJLi1ELi2EEEESX_SY_NST_IJLi5ELi6EEEES11_EEENST_IJLi5ELi7ELi6EEEElEENSB_INS5_IJSK_SP_SP_EEENS5_IJSU_SV_SW_EEENS5_IJS1M_SX_SY_EEENST_IJLi3ELi4EEEElEELi128ELi128ELi16ELi1ELi4ELi4ELi1ENST_IJLi8ELi2EEEES1W_NST_IJLi8ELi1ELi1ELi1EEEENST_IJLi2ELi1ELi128ELi1EEEENST_IJLi1ELi2ELi0ELi3EEEES1Z_NST_IJLi4ELi1ELi1ELi1EEEES1Z_NST_IJLi1ELi1ELi1ELi1EEEES1X_S1Y_S1Z_S1Z_S20_S1Z_S21_NST_IJLi0ELi1ELi2ELi3ELi4ELi5EEEELi5ELi4EEEfNS5_IJPKfEEEfS8_S8_S9_NSB_INS5_IJSE_SG_SI_SI_SG_SG_SK_SK_SG_SN_SN_SP_SP_SR_SG_SG_NSQ_INS5_IJiNS_17integral_constantIiLi128EEEEEELb0EEENSF_INS27_IiLi1EEEEEEEENS5_IJSU_SV_SW_SX_SY_SZ_S10_S11_S12_S13_S14_S15_S16_S17_S18_NST_IJLi19EEEES1G_NST_IJLi20EEEEEEENS5_IJS1A_SZ_S10_S11_S12_S1B_S1C_S1D_S1E_S15_S16_S18_S17_S1F_S1G_NST_IJLi22EEEENST_IJLi23ELi24EEEENST_IJLi25EEEEEEENST_IJLi22ELi23ELi24ELi25EEEElEENSB_INS5_IJSR_SP_SP_SR_SG_SG_S2A_S2C_EEENS5_IJSU_SV_SW_SY_SX_SZ_S11_S10_EEENS5_IJS1M_SX_SY_S1N_S11_S12_NST_IJLi9ELi10EEEENST_IJLi11EEEEEEENST_IJLi8ELi9ELi10ELi11EEEElEENS5_IJNSB_INS5_IJSK_SP_SP_NSQ_INS5_IJiNS27_IiLi2EEENS27_IiLi64EEEEEELb0EEES2X_EEENS5_IJSU_SV_SW_SX_SY_EEENS5_IJS1M_SX_SY_NST_IJLi5ELi6ELi7EEEENST_IJLi8ELi9ELi10EEEEEEENST_IJLi5ELi6ELi7ELi8ELi9ELi10EEEElEEEEES34_NS_31BlockToCTileMap_M00_N00_M01_N01ILi128ELi128ES1V_Lb0EEENS1_30ComputePtrOffsetOfStridedBatchILi1ELi1ELi1EvEELb1ELb1EEEvPKT0_S3C_T1_PT2_T3_T4_T5_iT6_T7_T8_T9_T10_T11_
	.p2align	8
	.type	_ZN2ck16tensor_operation6device12_GLOBAL__N_137kernel_grouped_conv_fwd_dl_multiple_dINS_32GridwiseGemmDlMultipleD_km_kn_mnILi256EffNS_5TupleIJfEEEfNS0_12element_wise11PassThroughES8_NS7_7AddReluELNS_25InMemoryDataOperationEnumE0ENS_16TensorDescriptorINS5_IJNS_5EmbedINS5_IJiiiiEEESD_Lb0EEENS_11PassThroughIiEENS_3PadIiiiLb0EEESI_SG_SG_NSC_INS5_IJiiEEESJ_Lb0EEESK_SG_NS_23Merge_v2_magic_divisionINS5_IJiiiEEEEESN_NS_8RightPadIiiLb0EEESP_NS_7UnMergeISJ_Lb0EEESG_EEENS5_IJNS_8SequenceIJLi0EEEENST_IJLi1EEEENST_IJLi2EEEENST_IJLi3EEEENST_IJLi4EEEENST_IJLi5EEEENST_IJLi6EEEENST_IJLi7EEEENST_IJLi8EEEENST_IJLi9ELi11ELi13EEEENST_IJLi10ELi12ELi14EEEENST_IJLi15EEEENST_IJLi16EEEENST_IJLi18EEEENST_IJLi17EEEEEEENS5_IJNST_IJLi1ELi2ELi3ELi4EEEESZ_S10_S11_S12_NST_IJLi9EEEENST_IJLi10ELi11EEEENST_IJLi12ELi13EEEENST_IJLi14EEEES15_S16_S18_S17_NST_IJLi19ELi20EEEENST_IJLi21EEEEEEENST_IJLi19ELi21ELi20EEEElEENSB_INS5_IJSR_SP_SP_SR_SG_EEENS5_IJSU_SV_SW_SY_SX_EEENS5_IJNST_IJLi1ELi2EEEESX_SY_NST_IJLi5ELi6EEEES11_EEENST_IJLi5ELi7ELi6EEEElEENSB_INS5_IJSK_SP_SP_EEENS5_IJSU_SV_SW_EEENS5_IJS1M_SX_SY_EEENST_IJLi3ELi4EEEElEELi128ELi128ELi16ELi1ELi4ELi4ELi1ENST_IJLi8ELi2EEEES1W_NST_IJLi8ELi1ELi1ELi1EEEENST_IJLi2ELi1ELi128ELi1EEEENST_IJLi1ELi2ELi0ELi3EEEES1Z_NST_IJLi4ELi1ELi1ELi1EEEES1Z_NST_IJLi1ELi1ELi1ELi1EEEES1X_S1Y_S1Z_S1Z_S20_S1Z_S21_NST_IJLi0ELi1ELi2ELi3ELi4ELi5EEEELi5ELi4EEEfNS5_IJPKfEEEfS8_S8_S9_NSB_INS5_IJSE_SG_SI_SI_SG_SG_SK_SK_SG_SN_SN_SP_SP_SR_SG_SG_NSQ_INS5_IJiNS_17integral_constantIiLi128EEEEEELb0EEENSF_INS27_IiLi1EEEEEEEENS5_IJSU_SV_SW_SX_SY_SZ_S10_S11_S12_S13_S14_S15_S16_S17_S18_NST_IJLi19EEEES1G_NST_IJLi20EEEEEEENS5_IJS1A_SZ_S10_S11_S12_S1B_S1C_S1D_S1E_S15_S16_S18_S17_S1F_S1G_NST_IJLi22EEEENST_IJLi23ELi24EEEENST_IJLi25EEEEEEENST_IJLi22ELi23ELi24ELi25EEEElEENSB_INS5_IJSR_SP_SP_SR_SG_SG_S2A_S2C_EEENS5_IJSU_SV_SW_SY_SX_SZ_S11_S10_EEENS5_IJS1M_SX_SY_S1N_S11_S12_NST_IJLi9ELi10EEEENST_IJLi11EEEEEEENST_IJLi8ELi9ELi10ELi11EEEElEENS5_IJNSB_INS5_IJSK_SP_SP_NSQ_INS5_IJiNS27_IiLi2EEENS27_IiLi64EEEEEELb0EEES2X_EEENS5_IJSU_SV_SW_SX_SY_EEENS5_IJS1M_SX_SY_NST_IJLi5ELi6ELi7EEEENST_IJLi8ELi9ELi10EEEEEEENST_IJLi5ELi6ELi7ELi8ELi9ELi10EEEElEEEEES34_NS_31BlockToCTileMap_M00_N00_M01_N01ILi128ELi128ES1V_Lb0EEENS1_30ComputePtrOffsetOfStridedBatchILi1ELi1ELi1EvEELb1ELb1EEEvPKT0_S3C_T1_PT2_T3_T4_T5_iT6_T7_T8_T9_T10_T11_,@function
_ZN2ck16tensor_operation6device12_GLOBAL__N_137kernel_grouped_conv_fwd_dl_multiple_dINS_32GridwiseGemmDlMultipleD_km_kn_mnILi256EffNS_5TupleIJfEEEfNS0_12element_wise11PassThroughES8_NS7_7AddReluELNS_25InMemoryDataOperationEnumE0ENS_16TensorDescriptorINS5_IJNS_5EmbedINS5_IJiiiiEEESD_Lb0EEENS_11PassThroughIiEENS_3PadIiiiLb0EEESI_SG_SG_NSC_INS5_IJiiEEESJ_Lb0EEESK_SG_NS_23Merge_v2_magic_divisionINS5_IJiiiEEEEESN_NS_8RightPadIiiLb0EEESP_NS_7UnMergeISJ_Lb0EEESG_EEENS5_IJNS_8SequenceIJLi0EEEENST_IJLi1EEEENST_IJLi2EEEENST_IJLi3EEEENST_IJLi4EEEENST_IJLi5EEEENST_IJLi6EEEENST_IJLi7EEEENST_IJLi8EEEENST_IJLi9ELi11ELi13EEEENST_IJLi10ELi12ELi14EEEENST_IJLi15EEEENST_IJLi16EEEENST_IJLi18EEEENST_IJLi17EEEEEEENS5_IJNST_IJLi1ELi2ELi3ELi4EEEESZ_S10_S11_S12_NST_IJLi9EEEENST_IJLi10ELi11EEEENST_IJLi12ELi13EEEENST_IJLi14EEEES15_S16_S18_S17_NST_IJLi19ELi20EEEENST_IJLi21EEEEEEENST_IJLi19ELi21ELi20EEEElEENSB_INS5_IJSR_SP_SP_SR_SG_EEENS5_IJSU_SV_SW_SY_SX_EEENS5_IJNST_IJLi1ELi2EEEESX_SY_NST_IJLi5ELi6EEEES11_EEENST_IJLi5ELi7ELi6EEEElEENSB_INS5_IJSK_SP_SP_EEENS5_IJSU_SV_SW_EEENS5_IJS1M_SX_SY_EEENST_IJLi3ELi4EEEElEELi128ELi128ELi16ELi1ELi4ELi4ELi1ENST_IJLi8ELi2EEEES1W_NST_IJLi8ELi1ELi1ELi1EEEENST_IJLi2ELi1ELi128ELi1EEEENST_IJLi1ELi2ELi0ELi3EEEES1Z_NST_IJLi4ELi1ELi1ELi1EEEES1Z_NST_IJLi1ELi1ELi1ELi1EEEES1X_S1Y_S1Z_S1Z_S20_S1Z_S21_NST_IJLi0ELi1ELi2ELi3ELi4ELi5EEEELi5ELi4EEEfNS5_IJPKfEEEfS8_S8_S9_NSB_INS5_IJSE_SG_SI_SI_SG_SG_SK_SK_SG_SN_SN_SP_SP_SR_SG_SG_NSQ_INS5_IJiNS_17integral_constantIiLi128EEEEEELb0EEENSF_INS27_IiLi1EEEEEEEENS5_IJSU_SV_SW_SX_SY_SZ_S10_S11_S12_S13_S14_S15_S16_S17_S18_NST_IJLi19EEEES1G_NST_IJLi20EEEEEEENS5_IJS1A_SZ_S10_S11_S12_S1B_S1C_S1D_S1E_S15_S16_S18_S17_S1F_S1G_NST_IJLi22EEEENST_IJLi23ELi24EEEENST_IJLi25EEEEEEENST_IJLi22ELi23ELi24ELi25EEEElEENSB_INS5_IJSR_SP_SP_SR_SG_SG_S2A_S2C_EEENS5_IJSU_SV_SW_SY_SX_SZ_S11_S10_EEENS5_IJS1M_SX_SY_S1N_S11_S12_NST_IJLi9ELi10EEEENST_IJLi11EEEEEEENST_IJLi8ELi9ELi10ELi11EEEElEENS5_IJNSB_INS5_IJSK_SP_SP_NSQ_INS5_IJiNS27_IiLi2EEENS27_IiLi64EEEEEELb0EEES2X_EEENS5_IJSU_SV_SW_SX_SY_EEENS5_IJS1M_SX_SY_NST_IJLi5ELi6ELi7EEEENST_IJLi8ELi9ELi10EEEEEEENST_IJLi5ELi6ELi7ELi8ELi9ELi10EEEElEEEEES34_NS_31BlockToCTileMap_M00_N00_M01_N01ILi128ELi128ES1V_Lb0EEENS1_30ComputePtrOffsetOfStridedBatchILi1ELi1ELi1EvEELb1ELb1EEEvPKT0_S3C_T1_PT2_T3_T4_T5_iT6_T7_T8_T9_T10_T11_: ; @_ZN2ck16tensor_operation6device12_GLOBAL__N_137kernel_grouped_conv_fwd_dl_multiple_dINS_32GridwiseGemmDlMultipleD_km_kn_mnILi256EffNS_5TupleIJfEEEfNS0_12element_wise11PassThroughES8_NS7_7AddReluELNS_25InMemoryDataOperationEnumE0ENS_16TensorDescriptorINS5_IJNS_5EmbedINS5_IJiiiiEEESD_Lb0EEENS_11PassThroughIiEENS_3PadIiiiLb0EEESI_SG_SG_NSC_INS5_IJiiEEESJ_Lb0EEESK_SG_NS_23Merge_v2_magic_divisionINS5_IJiiiEEEEESN_NS_8RightPadIiiLb0EEESP_NS_7UnMergeISJ_Lb0EEESG_EEENS5_IJNS_8SequenceIJLi0EEEENST_IJLi1EEEENST_IJLi2EEEENST_IJLi3EEEENST_IJLi4EEEENST_IJLi5EEEENST_IJLi6EEEENST_IJLi7EEEENST_IJLi8EEEENST_IJLi9ELi11ELi13EEEENST_IJLi10ELi12ELi14EEEENST_IJLi15EEEENST_IJLi16EEEENST_IJLi18EEEENST_IJLi17EEEEEEENS5_IJNST_IJLi1ELi2ELi3ELi4EEEESZ_S10_S11_S12_NST_IJLi9EEEENST_IJLi10ELi11EEEENST_IJLi12ELi13EEEENST_IJLi14EEEES15_S16_S18_S17_NST_IJLi19ELi20EEEENST_IJLi21EEEEEEENST_IJLi19ELi21ELi20EEEElEENSB_INS5_IJSR_SP_SP_SR_SG_EEENS5_IJSU_SV_SW_SY_SX_EEENS5_IJNST_IJLi1ELi2EEEESX_SY_NST_IJLi5ELi6EEEES11_EEENST_IJLi5ELi7ELi6EEEElEENSB_INS5_IJSK_SP_SP_EEENS5_IJSU_SV_SW_EEENS5_IJS1M_SX_SY_EEENST_IJLi3ELi4EEEElEELi128ELi128ELi16ELi1ELi4ELi4ELi1ENST_IJLi8ELi2EEEES1W_NST_IJLi8ELi1ELi1ELi1EEEENST_IJLi2ELi1ELi128ELi1EEEENST_IJLi1ELi2ELi0ELi3EEEES1Z_NST_IJLi4ELi1ELi1ELi1EEEES1Z_NST_IJLi1ELi1ELi1ELi1EEEES1X_S1Y_S1Z_S1Z_S20_S1Z_S21_NST_IJLi0ELi1ELi2ELi3ELi4ELi5EEEELi5ELi4EEEfNS5_IJPKfEEEfS8_S8_S9_NSB_INS5_IJSE_SG_SI_SI_SG_SG_SK_SK_SG_SN_SN_SP_SP_SR_SG_SG_NSQ_INS5_IJiNS_17integral_constantIiLi128EEEEEELb0EEENSF_INS27_IiLi1EEEEEEEENS5_IJSU_SV_SW_SX_SY_SZ_S10_S11_S12_S13_S14_S15_S16_S17_S18_NST_IJLi19EEEES1G_NST_IJLi20EEEEEEENS5_IJS1A_SZ_S10_S11_S12_S1B_S1C_S1D_S1E_S15_S16_S18_S17_S1F_S1G_NST_IJLi22EEEENST_IJLi23ELi24EEEENST_IJLi25EEEEEEENST_IJLi22ELi23ELi24ELi25EEEElEENSB_INS5_IJSR_SP_SP_SR_SG_SG_S2A_S2C_EEENS5_IJSU_SV_SW_SY_SX_SZ_S11_S10_EEENS5_IJS1M_SX_SY_S1N_S11_S12_NST_IJLi9ELi10EEEENST_IJLi11EEEEEEENST_IJLi8ELi9ELi10ELi11EEEElEENS5_IJNSB_INS5_IJSK_SP_SP_NSQ_INS5_IJiNS27_IiLi2EEENS27_IiLi64EEEEEELb0EEES2X_EEENS5_IJSU_SV_SW_SX_SY_EEENS5_IJS1M_SX_SY_NST_IJLi5ELi6ELi7EEEENST_IJLi8ELi9ELi10EEEEEEENST_IJLi5ELi6ELi7ELi8ELi9ELi10EEEElEEEEES34_NS_31BlockToCTileMap_M00_N00_M01_N01ILi128ELi128ES1V_Lb0EEENS1_30ComputePtrOffsetOfStridedBatchILi1ELi1ELi1EvEELb1ELb1EEEvPKT0_S3C_T1_PT2_T3_T4_T5_iT6_T7_T8_T9_T10_T11_
; %bb.0:
	s_add_u32 flat_scratch_lo, s6, s9
	s_mov_b32 s12, s8
	s_load_dwordx8 s[16:23], s[4:5], 0x0
	s_load_dword s8, s[4:5], 0x24
	s_load_dwordx8 s[76:83], s[4:5], 0x28
	s_addc_u32 flat_scratch_hi, s7, 0
	s_add_u32 s0, s0, s9
	s_load_dwordx8 s[24:31], s[4:5], 0x48
	s_load_dwordx8 s[36:43], s[4:5], 0x68
	s_load_dwordx8 s[44:51], s[4:5], 0x88
	s_load_dwordx2 s[10:11], s[4:5], 0x128
	s_load_dwordx8 s[52:59], s[4:5], 0xa8
	s_load_dwordx8 s[60:67], s[4:5], 0xc8
	;; [unrolled: 1-line block ×4, first 2 shown]
	s_addc_u32 s1, s1, 0
	s_waitcnt lgkmcnt(0)
	v_mov_b32_e32 v1, s11
	buffer_store_dword v1, off, s[0:3], 0 offset:260
	v_mov_b32_e32 v1, s10
	buffer_store_dword v1, off, s[0:3], 0 offset:256
	v_mov_b32_e32 v1, s76
	buffer_store_dword v1, off, s[0:3], 0
	v_mov_b32_e32 v1, s77
	buffer_store_dword v1, off, s[0:3], 0 offset:4
	v_mov_b32_e32 v1, s78
	buffer_store_dword v1, off, s[0:3], 0 offset:8
	;; [unrolled: 2-line block ×58, first 2 shown]
	v_mov_b32_e32 v1, s28
	s_load_dwordx8 s[36:43], s[4:5], 0x130
	buffer_store_dword v1, off, s[0:3], 0 offset:48
	v_mov_b32_e32 v1, s27
	buffer_store_dword v1, off, s[0:3], 0 offset:44
	v_mov_b32_e32 v1, s26
	;; [unrolled: 2-line block ×4, first 2 shown]
	buffer_store_dword v1, off, s[0:3], 0 offset:32
	s_waitcnt lgkmcnt(0)
	v_mov_b32_e32 v1, s39
	buffer_store_dword v1, off, s[0:3], 0 offset:276
	v_mov_b32_e32 v1, s38
	buffer_store_dword v1, off, s[0:3], 0 offset:272
	v_mov_b32_e32 v1, s37
	s_load_dwordx8 s[24:31], s[4:5], 0x150
	buffer_store_dword v1, off, s[0:3], 0 offset:268
	v_mov_b32_e32 v1, s36
	buffer_store_dword v1, off, s[0:3], 0 offset:264
	v_mov_b32_e32 v1, s43
	;; [unrolled: 2-line block ×5, first 2 shown]
	buffer_store_dword v1, off, s[0:3], 0 offset:280
	s_waitcnt lgkmcnt(0)
	v_mov_b32_e32 v1, s27
	buffer_store_dword v1, off, s[0:3], 0 offset:308
	v_mov_b32_e32 v1, s26
	buffer_store_dword v1, off, s[0:3], 0 offset:304
	;; [unrolled: 2-line block ×3, first 2 shown]
	v_mov_b32_e32 v1, s24
	s_load_dwordx8 s[36:43], s[4:5], 0x170
	buffer_store_dword v1, off, s[0:3], 0 offset:296
	v_mov_b32_e32 v1, s31
	buffer_store_dword v1, off, s[0:3], 0 offset:324
	v_mov_b32_e32 v1, s30
	;; [unrolled: 2-line block ×4, first 2 shown]
	buffer_store_dword v1, off, s[0:3], 0 offset:312
	s_waitcnt lgkmcnt(0)
	v_mov_b32_e32 v1, s39
	buffer_store_dword v1, off, s[0:3], 0 offset:340
	v_mov_b32_e32 v1, s38
	buffer_store_dword v1, off, s[0:3], 0 offset:336
	;; [unrolled: 2-line block ×5, first 2 shown]
	v_mov_b32_e32 v1, s42
	s_load_dwordx8 s[24:31], s[4:5], 0x1d0
	buffer_store_dword v1, off, s[0:3], 0 offset:352
	v_mov_b32_e32 v1, s41
	buffer_store_dword v1, off, s[0:3], 0 offset:348
	v_mov_b32_e32 v1, s40
	buffer_store_dword v1, off, s[0:3], 0 offset:344
	s_load_dwordx8 s[36:43], s[4:5], 0x190
	s_load_dwordx8 s[44:51], s[4:5], 0x1b0
	s_waitcnt lgkmcnt(0)
	v_mov_b32_e32 v1, s27
	buffer_store_dword v1, off, s[0:3], 0 offset:436
	v_mov_b32_e32 v1, s26
	buffer_store_dword v1, off, s[0:3], 0 offset:432
	;; [unrolled: 2-line block ×15, first 2 shown]
	v_mov_b32_e32 v1, s40
	s_load_dwordx8 s[40:47], s[4:5], 0x210
	buffer_store_dword v1, off, s[0:3], 0 offset:376
	v_mov_b32_e32 v1, s39
	buffer_store_dword v1, off, s[0:3], 0 offset:372
	v_mov_b32_e32 v1, s38
	;; [unrolled: 2-line block ×4, first 2 shown]
	buffer_store_dword v1, off, s[0:3], 0 offset:360
	s_waitcnt lgkmcnt(0)
	v_mov_b32_e32 v1, s47
	buffer_store_dword v1, off, s[0:3], 0 offset:516
	v_mov_b32_e32 v1, s46
	buffer_store_dword v1, off, s[0:3], 0 offset:512
	v_mov_b32_e32 v1, s45
	s_load_dwordx8 s[48:55], s[4:5], 0x1f0
	buffer_store_dword v1, off, s[0:3], 0 offset:508
	v_mov_b32_e32 v1, s44
	buffer_store_dword v1, off, s[0:3], 0 offset:504
	v_mov_b32_e32 v1, s43
	;; [unrolled: 2-line block ×5, first 2 shown]
	buffer_store_dword v1, off, s[0:3], 0 offset:488
	s_waitcnt lgkmcnt(0)
	v_mov_b32_e32 v1, s55
	buffer_store_dword v1, off, s[0:3], 0 offset:484
	v_mov_b32_e32 v1, s54
	buffer_store_dword v1, off, s[0:3], 0 offset:480
	;; [unrolled: 2-line block ×6, first 2 shown]
	v_mov_b32_e32 v1, s49
	s_mov_b64 s[6:7], src_private_base
	buffer_store_dword v1, off, s[0:3], 0 offset:460
	v_mov_b32_e32 v1, s48
	buffer_store_dword v1, off, s[0:3], 0 offset:456
	v_mov_b32_e32 v1, s31
	s_abs_i32 s6, s8
	buffer_store_dword v1, off, s[0:3], 0 offset:452
	v_mov_b32_e32 v1, s30
	s_load_dwordx4 s[52:55], s[4:5], 0x290
	v_cvt_f32_u32_e32 v2, s6
	buffer_store_dword v1, off, s[0:3], 0 offset:448
	v_mov_b32_e32 v1, s29
	buffer_store_dword v1, off, s[0:3], 0 offset:444
	v_mov_b32_e32 v1, s28
	buffer_store_dword v1, off, s[0:3], 0 offset:440
	s_load_dwordx8 s[24:31], s[4:5], 0x230
	s_load_dwordx8 s[36:43], s[4:5], 0x250
	;; [unrolled: 1-line block ×3, first 2 shown]
	s_load_dword s9, s[4:5], 0x2c8
	v_rcp_iflag_f32_e32 v2, v2
	s_waitcnt lgkmcnt(0)
	v_mov_b32_e32 v1, s55
	buffer_store_dword v1, off, s[0:3], 0 offset:628
	v_mov_b32_e32 v1, s54
	buffer_store_dword v1, off, s[0:3], 0 offset:624
	;; [unrolled: 2-line block ×3, first 2 shown]
	v_mov_b32_e32 v1, s52
	v_mul_f32_e32 v2, 0x4f7ffffe, v2
	buffer_store_dword v1, off, s[0:3], 0 offset:616
	v_mov_b32_e32 v1, s51
	v_cvt_u32_f32_e32 v2, v2
	buffer_store_dword v1, off, s[0:3], 0 offset:612
	v_mov_b32_e32 v1, s50
	buffer_store_dword v1, off, s[0:3], 0 offset:608
	v_mov_b32_e32 v1, s49
	;; [unrolled: 2-line block ×4, first 2 shown]
	s_sub_i32 s10, 0, s6
	v_readfirstlane_b32 s11, v2
	buffer_store_dword v1, off, s[0:3], 0 offset:596
	v_mov_b32_e32 v1, s46
	s_mul_i32 s10, s10, s11
	buffer_store_dword v1, off, s[0:3], 0 offset:592
	v_mov_b32_e32 v1, s45
	s_mul_hi_u32 s10, s11, s10
	buffer_store_dword v1, off, s[0:3], 0 offset:588
	v_mov_b32_e32 v1, s44
	s_xor_b32 s8, s9, s8
	s_abs_i32 s9, s9
	s_add_i32 s11, s11, s10
	buffer_store_dword v1, off, s[0:3], 0 offset:584
	v_mov_b32_e32 v1, s43
	s_mul_hi_u32 s10, s9, s11
	buffer_store_dword v1, off, s[0:3], 0 offset:580
	v_mov_b32_e32 v1, s42
	s_mul_i32 s11, s10, s6
	buffer_store_dword v1, off, s[0:3], 0 offset:576
	v_mov_b32_e32 v1, s41
	s_sub_i32 s9, s9, s11
	buffer_store_dword v1, off, s[0:3], 0 offset:572
	v_mov_b32_e32 v1, s40
	s_ashr_i32 s8, s8, 31
	s_add_i32 s11, s10, 1
	s_sub_i32 s13, s9, s6
	buffer_store_dword v1, off, s[0:3], 0 offset:568
	v_mov_b32_e32 v1, s39
	s_cmp_ge_u32 s9, s6
	buffer_store_dword v1, off, s[0:3], 0 offset:564
	v_mov_b32_e32 v1, s38
	s_cselect_b32 s10, s11, s10
	buffer_store_dword v1, off, s[0:3], 0 offset:560
	v_mov_b32_e32 v1, s37
	s_cselect_b32 s9, s13, s9
	s_add_i32 s11, s10, 1
	buffer_store_dword v1, off, s[0:3], 0 offset:556
	v_mov_b32_e32 v1, s36
	s_cmp_ge_u32 s9, s6
	buffer_store_dword v1, off, s[0:3], 0 offset:552
	v_mov_b32_e32 v1, s31
	s_cselect_b32 s6, s11, s10
	buffer_store_dword v1, off, s[0:3], 0 offset:548
	v_mov_b32_e32 v1, s30
	s_xor_b32 s6, s6, s8
	buffer_store_dword v1, off, s[0:3], 0 offset:544
	v_mov_b32_e32 v1, s29
	s_sub_i32 s6, s6, s8
	buffer_store_dword v1, off, s[0:3], 0 offset:540
	v_mov_b32_e32 v1, s28
	s_abs_i32 s8, s6
	buffer_store_dword v1, off, s[0:3], 0 offset:536
	v_mov_b32_e32 v1, s27
	v_cvt_f32_u32_e32 v2, s8
	buffer_store_dword v1, off, s[0:3], 0 offset:532
	v_mov_b32_e32 v1, s26
	buffer_store_dword v1, off, s[0:3], 0 offset:528
	v_mov_b32_e32 v1, s25
	;; [unrolled: 2-line block ×3, first 2 shown]
	buffer_store_dword v1, off, s[0:3], 0 offset:520
	v_rcp_iflag_f32_e32 v1, v2
	s_sub_i32 s11, 0, s8
	s_abs_i32 s10, s12
	s_xor_b32 s6, s12, s6
	v_mul_f32_e32 v1, 0x4f7ffffe, v1
	v_cvt_u32_f32_e32 v1, v1
	s_ashr_i32 s6, s6, 31
	s_load_dwordx8 s[24:31], s[4:5], 0x2a0
	s_mov_b32 s9, 0
	v_readfirstlane_b32 s13, v1
	s_mul_i32 s11, s11, s13
	s_mul_hi_u32 s11, s13, s11
	s_add_i32 s13, s13, s11
	s_mul_hi_u32 s11, s10, s13
	s_mul_i32 s13, s11, s8
	s_sub_i32 s10, s10, s13
	s_add_i32 s13, s11, 1
	s_sub_i32 s14, s10, s8
	s_cmp_ge_u32 s10, s8
	s_cselect_b32 s11, s13, s11
	s_cselect_b32 s10, s14, s10
	s_add_i32 s13, s11, 1
	s_cmp_ge_u32 s10, s8
	s_cselect_b32 s8, s13, s11
	s_xor_b32 s8, s8, s6
	s_sub_i32 s6, s8, s6
	s_ashr_i32 s13, s6, 31
	s_waitcnt lgkmcnt(0)
	s_mul_i32 s8, s24, s13
	s_mul_hi_u32 s10, s24, s6
	s_add_i32 s8, s10, s8
	s_mul_i32 s10, s25, s6
	s_add_i32 s33, s8, s10
	s_mul_i32 s8, s24, s6
	s_mul_i32 s10, s26, s13
	s_mul_i32 s14, s30, s13
	s_mul_i32 s13, s28, s13
	s_mul_hi_u32 s24, s28, s6
	s_mul_hi_u32 s11, s26, s6
	s_mul_hi_u32 s15, s30, s6
	s_add_i32 s13, s24, s13
	s_mul_i32 s24, s29, s6
	s_add_i32 s10, s11, s10
	s_mul_i32 s11, s27, s6
	s_add_i32 s14, s15, s14
	s_mul_i32 s15, s31, s6
	s_add_i32 s25, s13, s24
	s_mul_i32 s24, s28, s6
	s_add_i32 s27, s10, s11
	s_mul_i32 s10, s26, s6
	s_add_i32 s26, s14, s15
	s_lshl_b64 s[24:25], s[24:25], 2
	s_mul_i32 s14, s30, s6
	s_add_u32 s6, s20, s24
	s_addc_u32 s13, s21, s25
	s_lshl_b32 s21, s33, 2
	s_mov_b32 s20, s9
	s_lshl_b64 s[24:25], s[8:9], 2
	s_or_b64 s[20:21], s[20:21], s[24:25]
	s_mov_b32 s11, s9
	s_add_u32 s20, s16, s20
	s_addc_u32 s21, s17, s21
	s_lshl_b32 s17, s27, 2
	s_mov_b32 s16, s9
	s_lshl_b64 s[10:11], s[10:11], 2
	s_or_b64 s[10:11], s[16:17], s[10:11]
	s_mov_b32 s15, s9
	s_add_u32 s16, s18, s10
	s_addc_u32 s17, s19, s11
	s_lshl_b32 s11, s26, 2
	s_mov_b32 s10, s9
	s_lshl_b64 s[8:9], s[14:15], 2
	s_or_b64 s[8:9], s[10:11], s[8:9]
	s_add_u32 s10, s22, s8
	s_addc_u32 s11, s23, s9
	s_add_u32 s8, s4, 0x2c8
	s_addc_u32 s9, s5, 0
	v_mov_b32_e32 v31, v0
	v_mov_b32_e32 v0, s20
	;; [unrolled: 1-line block ×19, first 2 shown]
	s_mov_b32 s32, 0xa000
	s_getpc_b64 s[4:5]
	s_add_u32 s4, s4, _ZN2ck32GridwiseGemmDlMultipleD_km_kn_mnILi256EffNS_5TupleIJfEEEfNS_16tensor_operation12element_wise11PassThroughES5_NS4_7AddReluELNS_25InMemoryDataOperationEnumE0ENS_16TensorDescriptorINS1_IJNS_5EmbedINS1_IJiiiiEEESA_Lb0EEENS_11PassThroughIiEENS_3PadIiiiLb0EEESF_SD_SD_NS9_INS1_IJiiEEESG_Lb0EEESH_SD_NS_23Merge_v2_magic_divisionINS1_IJiiiEEEEESK_NS_8RightPadIiiLb0EEESM_NS_7UnMergeISG_Lb0EEESD_EEENS1_IJNS_8SequenceIJLi0EEEENSQ_IJLi1EEEENSQ_IJLi2EEEENSQ_IJLi3EEEENSQ_IJLi4EEEENSQ_IJLi5EEEENSQ_IJLi6EEEENSQ_IJLi7EEEENSQ_IJLi8EEEENSQ_IJLi9ELi11ELi13EEEENSQ_IJLi10ELi12ELi14EEEENSQ_IJLi15EEEENSQ_IJLi16EEEENSQ_IJLi18EEEENSQ_IJLi17EEEEEEENS1_IJNSQ_IJLi1ELi2ELi3ELi4EEEESW_SX_SY_SZ_NSQ_IJLi9EEEENSQ_IJLi10ELi11EEEENSQ_IJLi12ELi13EEEENSQ_IJLi14EEEES12_S13_S15_S14_NSQ_IJLi19ELi20EEEENSQ_IJLi21EEEEEEENSQ_IJLi19ELi21ELi20EEEElEENS8_INS1_IJSO_SM_SM_SO_SD_EEENS1_IJSR_SS_ST_SV_SU_EEENS1_IJNSQ_IJLi1ELi2EEEESU_SV_NSQ_IJLi5ELi6EEEESY_EEENSQ_IJLi5ELi7ELi6EEEElEENS8_INS1_IJSH_SM_SM_EEENS1_IJSR_SS_ST_EEENS1_IJS1J_SU_SV_EEENSQ_IJLi3ELi4EEEElEELi128ELi128ELi16ELi1ELi4ELi4ELi1ENSQ_IJLi8ELi2EEEES1T_NSQ_IJLi8ELi1ELi1ELi1EEEENSQ_IJLi2ELi1ELi128ELi1EEEENSQ_IJLi1ELi2ELi0ELi3EEEES1W_NSQ_IJLi4ELi1ELi1ELi1EEEES1W_NSQ_IJLi1ELi1ELi1ELi1EEEES1U_S1V_S1W_S1W_S1X_S1W_S1Y_NSQ_IJLi0ELi1ELi2ELi3ELi4ELi5EEEELi5ELi4EE3RunINS1_IJNS8_INS1_IJSH_SM_SM_NSN_INS1_IJiNS_17integral_constantIiLi2EEENS22_IiLi64EEEEEELb0EEES26_EEENS1_IJSR_SS_ST_SU_SV_EEENS1_IJS1J_SU_SV_NSQ_IJLi5ELi6ELi7EEEENSQ_IJLi8ELi9ELi10EEEEEEENSQ_IJLi5ELi6ELi7ELi8ELi9ELi10EEEElEEEEELb1ELb1ENS_31BlockToCTileMap_M00_N00_M01_N01ILi128ELi128ES1S_Lb0EEEEEvPKfS2I_NS1_IJS2I_EEEPfPvRKS5_S2N_RKS6_RKNS8_INS1_IJSB_SD_SF_SF_SD_SD_SH_SH_SD_SK_SK_SM_SM_SO_SD_SD_NSN_INS1_IJiNS22_IiLi128EEEEEELb0EEENSC_INS22_IiLi1EEEEEEEENS1_IJSR_SS_ST_SU_SV_SW_SX_SY_SZ_S10_S11_S12_S13_S14_S15_NSQ_IJLi19EEEES1D_NSQ_IJLi20EEEEEEENS1_IJS17_SW_SX_SY_SZ_S18_S19_S1A_S1B_S12_S13_S15_S14_S1C_S1D_NSQ_IJLi22EEEENSQ_IJLi23ELi24EEEENSQ_IJLi25EEEEEEENSQ_IJLi22ELi23ELi24ELi25EEEElEERKNS8_INS1_IJSO_SM_SM_SO_SD_SD_S2S_S2U_EEENS1_IJSR_SS_ST_SV_SU_SW_SY_SX_EEENS1_IJS1J_SU_SV_S1K_SY_SZ_NSQ_IJLi9ELi10EEEENSQ_IJLi11EEEEEEENSQ_IJLi8ELi9ELi10ELi11EEEElEERKT_RKS2D_RKT2_NS22_IbXT0_EEENS22_IbXT1_EEE@rel32@lo+4
	s_addc_u32 s5, s5, _ZN2ck32GridwiseGemmDlMultipleD_km_kn_mnILi256EffNS_5TupleIJfEEEfNS_16tensor_operation12element_wise11PassThroughES5_NS4_7AddReluELNS_25InMemoryDataOperationEnumE0ENS_16TensorDescriptorINS1_IJNS_5EmbedINS1_IJiiiiEEESA_Lb0EEENS_11PassThroughIiEENS_3PadIiiiLb0EEESF_SD_SD_NS9_INS1_IJiiEEESG_Lb0EEESH_SD_NS_23Merge_v2_magic_divisionINS1_IJiiiEEEEESK_NS_8RightPadIiiLb0EEESM_NS_7UnMergeISG_Lb0EEESD_EEENS1_IJNS_8SequenceIJLi0EEEENSQ_IJLi1EEEENSQ_IJLi2EEEENSQ_IJLi3EEEENSQ_IJLi4EEEENSQ_IJLi5EEEENSQ_IJLi6EEEENSQ_IJLi7EEEENSQ_IJLi8EEEENSQ_IJLi9ELi11ELi13EEEENSQ_IJLi10ELi12ELi14EEEENSQ_IJLi15EEEENSQ_IJLi16EEEENSQ_IJLi18EEEENSQ_IJLi17EEEEEEENS1_IJNSQ_IJLi1ELi2ELi3ELi4EEEESW_SX_SY_SZ_NSQ_IJLi9EEEENSQ_IJLi10ELi11EEEENSQ_IJLi12ELi13EEEENSQ_IJLi14EEEES12_S13_S15_S14_NSQ_IJLi19ELi20EEEENSQ_IJLi21EEEEEEENSQ_IJLi19ELi21ELi20EEEElEENS8_INS1_IJSO_SM_SM_SO_SD_EEENS1_IJSR_SS_ST_SV_SU_EEENS1_IJNSQ_IJLi1ELi2EEEESU_SV_NSQ_IJLi5ELi6EEEESY_EEENSQ_IJLi5ELi7ELi6EEEElEENS8_INS1_IJSH_SM_SM_EEENS1_IJSR_SS_ST_EEENS1_IJS1J_SU_SV_EEENSQ_IJLi3ELi4EEEElEELi128ELi128ELi16ELi1ELi4ELi4ELi1ENSQ_IJLi8ELi2EEEES1T_NSQ_IJLi8ELi1ELi1ELi1EEEENSQ_IJLi2ELi1ELi128ELi1EEEENSQ_IJLi1ELi2ELi0ELi3EEEES1W_NSQ_IJLi4ELi1ELi1ELi1EEEES1W_NSQ_IJLi1ELi1ELi1ELi1EEEES1U_S1V_S1W_S1W_S1X_S1W_S1Y_NSQ_IJLi0ELi1ELi2ELi3ELi4ELi5EEEELi5ELi4EE3RunINS1_IJNS8_INS1_IJSH_SM_SM_NSN_INS1_IJiNS_17integral_constantIiLi2EEENS22_IiLi64EEEEEELb0EEES26_EEENS1_IJSR_SS_ST_SU_SV_EEENS1_IJS1J_SU_SV_NSQ_IJLi5ELi6ELi7EEEENSQ_IJLi8ELi9ELi10EEEEEEENSQ_IJLi5ELi6ELi7ELi8ELi9ELi10EEEElEEEEELb1ELb1ENS_31BlockToCTileMap_M00_N00_M01_N01ILi128ELi128ES1S_Lb0EEEEEvPKfS2I_NS1_IJS2I_EEEPfPvRKS5_S2N_RKS6_RKNS8_INS1_IJSB_SD_SF_SF_SD_SD_SH_SH_SD_SK_SK_SM_SM_SO_SD_SD_NSN_INS1_IJiNS22_IiLi128EEEEEELb0EEENSC_INS22_IiLi1EEEEEEEENS1_IJSR_SS_ST_SU_SV_SW_SX_SY_SZ_S10_S11_S12_S13_S14_S15_NSQ_IJLi19EEEES1D_NSQ_IJLi20EEEEEEENS1_IJS17_SW_SX_SY_SZ_S18_S19_S1A_S1B_S12_S13_S15_S14_S1C_S1D_NSQ_IJLi22EEEENSQ_IJLi23ELi24EEEENSQ_IJLi25EEEEEEENSQ_IJLi22ELi23ELi24ELi25EEEElEERKNS8_INS1_IJSO_SM_SM_SO_SD_SD_S2S_S2U_EEENS1_IJSR_SS_ST_SV_SU_SW_SY_SX_EEENS1_IJS1J_SU_SV_S1K_SY_SZ_NSQ_IJLi9ELi10EEEENSQ_IJLi11EEEEEEENSQ_IJLi8ELi9ELi10ELi11EEEElEERKT_RKS2D_RKT2_NS22_IbXT0_EEENS22_IbXT1_EEE@rel32@hi+12
	s_swappc_b64 s[30:31], s[4:5]
	s_endpgm
	.section	.rodata,"a",@progbits
	.p2align	6, 0x0
	.amdhsa_kernel _ZN2ck16tensor_operation6device12_GLOBAL__N_137kernel_grouped_conv_fwd_dl_multiple_dINS_32GridwiseGemmDlMultipleD_km_kn_mnILi256EffNS_5TupleIJfEEEfNS0_12element_wise11PassThroughES8_NS7_7AddReluELNS_25InMemoryDataOperationEnumE0ENS_16TensorDescriptorINS5_IJNS_5EmbedINS5_IJiiiiEEESD_Lb0EEENS_11PassThroughIiEENS_3PadIiiiLb0EEESI_SG_SG_NSC_INS5_IJiiEEESJ_Lb0EEESK_SG_NS_23Merge_v2_magic_divisionINS5_IJiiiEEEEESN_NS_8RightPadIiiLb0EEESP_NS_7UnMergeISJ_Lb0EEESG_EEENS5_IJNS_8SequenceIJLi0EEEENST_IJLi1EEEENST_IJLi2EEEENST_IJLi3EEEENST_IJLi4EEEENST_IJLi5EEEENST_IJLi6EEEENST_IJLi7EEEENST_IJLi8EEEENST_IJLi9ELi11ELi13EEEENST_IJLi10ELi12ELi14EEEENST_IJLi15EEEENST_IJLi16EEEENST_IJLi18EEEENST_IJLi17EEEEEEENS5_IJNST_IJLi1ELi2ELi3ELi4EEEESZ_S10_S11_S12_NST_IJLi9EEEENST_IJLi10ELi11EEEENST_IJLi12ELi13EEEENST_IJLi14EEEES15_S16_S18_S17_NST_IJLi19ELi20EEEENST_IJLi21EEEEEEENST_IJLi19ELi21ELi20EEEElEENSB_INS5_IJSR_SP_SP_SR_SG_EEENS5_IJSU_SV_SW_SY_SX_EEENS5_IJNST_IJLi1ELi2EEEESX_SY_NST_IJLi5ELi6EEEES11_EEENST_IJLi5ELi7ELi6EEEElEENSB_INS5_IJSK_SP_SP_EEENS5_IJSU_SV_SW_EEENS5_IJS1M_SX_SY_EEENST_IJLi3ELi4EEEElEELi128ELi128ELi16ELi1ELi4ELi4ELi1ENST_IJLi8ELi2EEEES1W_NST_IJLi8ELi1ELi1ELi1EEEENST_IJLi2ELi1ELi128ELi1EEEENST_IJLi1ELi2ELi0ELi3EEEES1Z_NST_IJLi4ELi1ELi1ELi1EEEES1Z_NST_IJLi1ELi1ELi1ELi1EEEES1X_S1Y_S1Z_S1Z_S20_S1Z_S21_NST_IJLi0ELi1ELi2ELi3ELi4ELi5EEEELi5ELi4EEEfNS5_IJPKfEEEfS8_S8_S9_NSB_INS5_IJSE_SG_SI_SI_SG_SG_SK_SK_SG_SN_SN_SP_SP_SR_SG_SG_NSQ_INS5_IJiNS_17integral_constantIiLi128EEEEEELb0EEENSF_INS27_IiLi1EEEEEEEENS5_IJSU_SV_SW_SX_SY_SZ_S10_S11_S12_S13_S14_S15_S16_S17_S18_NST_IJLi19EEEES1G_NST_IJLi20EEEEEEENS5_IJS1A_SZ_S10_S11_S12_S1B_S1C_S1D_S1E_S15_S16_S18_S17_S1F_S1G_NST_IJLi22EEEENST_IJLi23ELi24EEEENST_IJLi25EEEEEEENST_IJLi22ELi23ELi24ELi25EEEElEENSB_INS5_IJSR_SP_SP_SR_SG_SG_S2A_S2C_EEENS5_IJSU_SV_SW_SY_SX_SZ_S11_S10_EEENS5_IJS1M_SX_SY_S1N_S11_S12_NST_IJLi9ELi10EEEENST_IJLi11EEEEEEENST_IJLi8ELi9ELi10ELi11EEEElEENS5_IJNSB_INS5_IJSK_SP_SP_NSQ_INS5_IJiNS27_IiLi2EEENS27_IiLi64EEEEEELb0EEES2X_EEENS5_IJSU_SV_SW_SX_SY_EEENS5_IJS1M_SX_SY_NST_IJLi5ELi6ELi7EEEENST_IJLi8ELi9ELi10EEEEEEENST_IJLi5ELi6ELi7ELi8ELi9ELi10EEEElEEEEES34_NS_31BlockToCTileMap_M00_N00_M01_N01ILi128ELi128ES1V_Lb0EEENS1_30ComputePtrOffsetOfStridedBatchILi1ELi1ELi1EvEELb1ELb1EEEvPKT0_S3C_T1_PT2_T3_T4_T5_iT6_T7_T8_T9_T10_T11_
		.amdhsa_group_segment_fixed_size 32768
		.amdhsa_private_segment_fixed_size 640
		.amdhsa_kernarg_size 968
		.amdhsa_user_sgpr_count 8
		.amdhsa_user_sgpr_private_segment_buffer 1
		.amdhsa_user_sgpr_dispatch_ptr 0
		.amdhsa_user_sgpr_queue_ptr 0
		.amdhsa_user_sgpr_kernarg_segment_ptr 1
		.amdhsa_user_sgpr_dispatch_id 0
		.amdhsa_user_sgpr_flat_scratch_init 1
		.amdhsa_user_sgpr_kernarg_preload_length 0
		.amdhsa_user_sgpr_kernarg_preload_offset 0
		.amdhsa_user_sgpr_private_segment_size 0
		.amdhsa_uses_dynamic_stack 0
		.amdhsa_system_sgpr_private_segment_wavefront_offset 1
		.amdhsa_system_sgpr_workgroup_id_x 1
		.amdhsa_system_sgpr_workgroup_id_y 0
		.amdhsa_system_sgpr_workgroup_id_z 0
		.amdhsa_system_sgpr_workgroup_info 0
		.amdhsa_system_vgpr_workitem_id 0
		.amdhsa_next_free_vgpr 142
		.amdhsa_next_free_sgpr 92
		.amdhsa_accum_offset 128
		.amdhsa_reserve_vcc 1
		.amdhsa_reserve_flat_scratch 1
		.amdhsa_float_round_mode_32 0
		.amdhsa_float_round_mode_16_64 0
		.amdhsa_float_denorm_mode_32 3
		.amdhsa_float_denorm_mode_16_64 3
		.amdhsa_dx10_clamp 1
		.amdhsa_ieee_mode 1
		.amdhsa_fp16_overflow 0
		.amdhsa_tg_split 0
		.amdhsa_exception_fp_ieee_invalid_op 0
		.amdhsa_exception_fp_denorm_src 0
		.amdhsa_exception_fp_ieee_div_zero 0
		.amdhsa_exception_fp_ieee_overflow 0
		.amdhsa_exception_fp_ieee_underflow 0
		.amdhsa_exception_fp_ieee_inexact 0
		.amdhsa_exception_int_div_zero 0
	.end_amdhsa_kernel
	.section	.text._ZN2ck16tensor_operation6device12_GLOBAL__N_137kernel_grouped_conv_fwd_dl_multiple_dINS_32GridwiseGemmDlMultipleD_km_kn_mnILi256EffNS_5TupleIJfEEEfNS0_12element_wise11PassThroughES8_NS7_7AddReluELNS_25InMemoryDataOperationEnumE0ENS_16TensorDescriptorINS5_IJNS_5EmbedINS5_IJiiiiEEESD_Lb0EEENS_11PassThroughIiEENS_3PadIiiiLb0EEESI_SG_SG_NSC_INS5_IJiiEEESJ_Lb0EEESK_SG_NS_23Merge_v2_magic_divisionINS5_IJiiiEEEEESN_NS_8RightPadIiiLb0EEESP_NS_7UnMergeISJ_Lb0EEESG_EEENS5_IJNS_8SequenceIJLi0EEEENST_IJLi1EEEENST_IJLi2EEEENST_IJLi3EEEENST_IJLi4EEEENST_IJLi5EEEENST_IJLi6EEEENST_IJLi7EEEENST_IJLi8EEEENST_IJLi9ELi11ELi13EEEENST_IJLi10ELi12ELi14EEEENST_IJLi15EEEENST_IJLi16EEEENST_IJLi18EEEENST_IJLi17EEEEEEENS5_IJNST_IJLi1ELi2ELi3ELi4EEEESZ_S10_S11_S12_NST_IJLi9EEEENST_IJLi10ELi11EEEENST_IJLi12ELi13EEEENST_IJLi14EEEES15_S16_S18_S17_NST_IJLi19ELi20EEEENST_IJLi21EEEEEEENST_IJLi19ELi21ELi20EEEElEENSB_INS5_IJSR_SP_SP_SR_SG_EEENS5_IJSU_SV_SW_SY_SX_EEENS5_IJNST_IJLi1ELi2EEEESX_SY_NST_IJLi5ELi6EEEES11_EEENST_IJLi5ELi7ELi6EEEElEENSB_INS5_IJSK_SP_SP_EEENS5_IJSU_SV_SW_EEENS5_IJS1M_SX_SY_EEENST_IJLi3ELi4EEEElEELi128ELi128ELi16ELi1ELi4ELi4ELi1ENST_IJLi8ELi2EEEES1W_NST_IJLi8ELi1ELi1ELi1EEEENST_IJLi2ELi1ELi128ELi1EEEENST_IJLi1ELi2ELi0ELi3EEEES1Z_NST_IJLi4ELi1ELi1ELi1EEEES1Z_NST_IJLi1ELi1ELi1ELi1EEEES1X_S1Y_S1Z_S1Z_S20_S1Z_S21_NST_IJLi0ELi1ELi2ELi3ELi4ELi5EEEELi5ELi4EEEfNS5_IJPKfEEEfS8_S8_S9_NSB_INS5_IJSE_SG_SI_SI_SG_SG_SK_SK_SG_SN_SN_SP_SP_SR_SG_SG_NSQ_INS5_IJiNS_17integral_constantIiLi128EEEEEELb0EEENSF_INS27_IiLi1EEEEEEEENS5_IJSU_SV_SW_SX_SY_SZ_S10_S11_S12_S13_S14_S15_S16_S17_S18_NST_IJLi19EEEES1G_NST_IJLi20EEEEEEENS5_IJS1A_SZ_S10_S11_S12_S1B_S1C_S1D_S1E_S15_S16_S18_S17_S1F_S1G_NST_IJLi22EEEENST_IJLi23ELi24EEEENST_IJLi25EEEEEEENST_IJLi22ELi23ELi24ELi25EEEElEENSB_INS5_IJSR_SP_SP_SR_SG_SG_S2A_S2C_EEENS5_IJSU_SV_SW_SY_SX_SZ_S11_S10_EEENS5_IJS1M_SX_SY_S1N_S11_S12_NST_IJLi9ELi10EEEENST_IJLi11EEEEEEENST_IJLi8ELi9ELi10ELi11EEEElEENS5_IJNSB_INS5_IJSK_SP_SP_NSQ_INS5_IJiNS27_IiLi2EEENS27_IiLi64EEEEEELb0EEES2X_EEENS5_IJSU_SV_SW_SX_SY_EEENS5_IJS1M_SX_SY_NST_IJLi5ELi6ELi7EEEENST_IJLi8ELi9ELi10EEEEEEENST_IJLi5ELi6ELi7ELi8ELi9ELi10EEEElEEEEES34_NS_31BlockToCTileMap_M00_N00_M01_N01ILi128ELi128ES1V_Lb0EEENS1_30ComputePtrOffsetOfStridedBatchILi1ELi1ELi1EvEELb1ELb1EEEvPKT0_S3C_T1_PT2_T3_T4_T5_iT6_T7_T8_T9_T10_T11_,"axG",@progbits,_ZN2ck16tensor_operation6device12_GLOBAL__N_137kernel_grouped_conv_fwd_dl_multiple_dINS_32GridwiseGemmDlMultipleD_km_kn_mnILi256EffNS_5TupleIJfEEEfNS0_12element_wise11PassThroughES8_NS7_7AddReluELNS_25InMemoryDataOperationEnumE0ENS_16TensorDescriptorINS5_IJNS_5EmbedINS5_IJiiiiEEESD_Lb0EEENS_11PassThroughIiEENS_3PadIiiiLb0EEESI_SG_SG_NSC_INS5_IJiiEEESJ_Lb0EEESK_SG_NS_23Merge_v2_magic_divisionINS5_IJiiiEEEEESN_NS_8RightPadIiiLb0EEESP_NS_7UnMergeISJ_Lb0EEESG_EEENS5_IJNS_8SequenceIJLi0EEEENST_IJLi1EEEENST_IJLi2EEEENST_IJLi3EEEENST_IJLi4EEEENST_IJLi5EEEENST_IJLi6EEEENST_IJLi7EEEENST_IJLi8EEEENST_IJLi9ELi11ELi13EEEENST_IJLi10ELi12ELi14EEEENST_IJLi15EEEENST_IJLi16EEEENST_IJLi18EEEENST_IJLi17EEEEEEENS5_IJNST_IJLi1ELi2ELi3ELi4EEEESZ_S10_S11_S12_NST_IJLi9EEEENST_IJLi10ELi11EEEENST_IJLi12ELi13EEEENST_IJLi14EEEES15_S16_S18_S17_NST_IJLi19ELi20EEEENST_IJLi21EEEEEEENST_IJLi19ELi21ELi20EEEElEENSB_INS5_IJSR_SP_SP_SR_SG_EEENS5_IJSU_SV_SW_SY_SX_EEENS5_IJNST_IJLi1ELi2EEEESX_SY_NST_IJLi5ELi6EEEES11_EEENST_IJLi5ELi7ELi6EEEElEENSB_INS5_IJSK_SP_SP_EEENS5_IJSU_SV_SW_EEENS5_IJS1M_SX_SY_EEENST_IJLi3ELi4EEEElEELi128ELi128ELi16ELi1ELi4ELi4ELi1ENST_IJLi8ELi2EEEES1W_NST_IJLi8ELi1ELi1ELi1EEEENST_IJLi2ELi1ELi128ELi1EEEENST_IJLi1ELi2ELi0ELi3EEEES1Z_NST_IJLi4ELi1ELi1ELi1EEEES1Z_NST_IJLi1ELi1ELi1ELi1EEEES1X_S1Y_S1Z_S1Z_S20_S1Z_S21_NST_IJLi0ELi1ELi2ELi3ELi4ELi5EEEELi5ELi4EEEfNS5_IJPKfEEEfS8_S8_S9_NSB_INS5_IJSE_SG_SI_SI_SG_SG_SK_SK_SG_SN_SN_SP_SP_SR_SG_SG_NSQ_INS5_IJiNS_17integral_constantIiLi128EEEEEELb0EEENSF_INS27_IiLi1EEEEEEEENS5_IJSU_SV_SW_SX_SY_SZ_S10_S11_S12_S13_S14_S15_S16_S17_S18_NST_IJLi19EEEES1G_NST_IJLi20EEEEEEENS5_IJS1A_SZ_S10_S11_S12_S1B_S1C_S1D_S1E_S15_S16_S18_S17_S1F_S1G_NST_IJLi22EEEENST_IJLi23ELi24EEEENST_IJLi25EEEEEEENST_IJLi22ELi23ELi24ELi25EEEElEENSB_INS5_IJSR_SP_SP_SR_SG_SG_S2A_S2C_EEENS5_IJSU_SV_SW_SY_SX_SZ_S11_S10_EEENS5_IJS1M_SX_SY_S1N_S11_S12_NST_IJLi9ELi10EEEENST_IJLi11EEEEEEENST_IJLi8ELi9ELi10ELi11EEEElEENS5_IJNSB_INS5_IJSK_SP_SP_NSQ_INS5_IJiNS27_IiLi2EEENS27_IiLi64EEEEEELb0EEES2X_EEENS5_IJSU_SV_SW_SX_SY_EEENS5_IJS1M_SX_SY_NST_IJLi5ELi6ELi7EEEENST_IJLi8ELi9ELi10EEEEEEENST_IJLi5ELi6ELi7ELi8ELi9ELi10EEEElEEEEES34_NS_31BlockToCTileMap_M00_N00_M01_N01ILi128ELi128ES1V_Lb0EEENS1_30ComputePtrOffsetOfStridedBatchILi1ELi1ELi1EvEELb1ELb1EEEvPKT0_S3C_T1_PT2_T3_T4_T5_iT6_T7_T8_T9_T10_T11_,comdat
.Lfunc_end8:
	.size	_ZN2ck16tensor_operation6device12_GLOBAL__N_137kernel_grouped_conv_fwd_dl_multiple_dINS_32GridwiseGemmDlMultipleD_km_kn_mnILi256EffNS_5TupleIJfEEEfNS0_12element_wise11PassThroughES8_NS7_7AddReluELNS_25InMemoryDataOperationEnumE0ENS_16TensorDescriptorINS5_IJNS_5EmbedINS5_IJiiiiEEESD_Lb0EEENS_11PassThroughIiEENS_3PadIiiiLb0EEESI_SG_SG_NSC_INS5_IJiiEEESJ_Lb0EEESK_SG_NS_23Merge_v2_magic_divisionINS5_IJiiiEEEEESN_NS_8RightPadIiiLb0EEESP_NS_7UnMergeISJ_Lb0EEESG_EEENS5_IJNS_8SequenceIJLi0EEEENST_IJLi1EEEENST_IJLi2EEEENST_IJLi3EEEENST_IJLi4EEEENST_IJLi5EEEENST_IJLi6EEEENST_IJLi7EEEENST_IJLi8EEEENST_IJLi9ELi11ELi13EEEENST_IJLi10ELi12ELi14EEEENST_IJLi15EEEENST_IJLi16EEEENST_IJLi18EEEENST_IJLi17EEEEEEENS5_IJNST_IJLi1ELi2ELi3ELi4EEEESZ_S10_S11_S12_NST_IJLi9EEEENST_IJLi10ELi11EEEENST_IJLi12ELi13EEEENST_IJLi14EEEES15_S16_S18_S17_NST_IJLi19ELi20EEEENST_IJLi21EEEEEEENST_IJLi19ELi21ELi20EEEElEENSB_INS5_IJSR_SP_SP_SR_SG_EEENS5_IJSU_SV_SW_SY_SX_EEENS5_IJNST_IJLi1ELi2EEEESX_SY_NST_IJLi5ELi6EEEES11_EEENST_IJLi5ELi7ELi6EEEElEENSB_INS5_IJSK_SP_SP_EEENS5_IJSU_SV_SW_EEENS5_IJS1M_SX_SY_EEENST_IJLi3ELi4EEEElEELi128ELi128ELi16ELi1ELi4ELi4ELi1ENST_IJLi8ELi2EEEES1W_NST_IJLi8ELi1ELi1ELi1EEEENST_IJLi2ELi1ELi128ELi1EEEENST_IJLi1ELi2ELi0ELi3EEEES1Z_NST_IJLi4ELi1ELi1ELi1EEEES1Z_NST_IJLi1ELi1ELi1ELi1EEEES1X_S1Y_S1Z_S1Z_S20_S1Z_S21_NST_IJLi0ELi1ELi2ELi3ELi4ELi5EEEELi5ELi4EEEfNS5_IJPKfEEEfS8_S8_S9_NSB_INS5_IJSE_SG_SI_SI_SG_SG_SK_SK_SG_SN_SN_SP_SP_SR_SG_SG_NSQ_INS5_IJiNS_17integral_constantIiLi128EEEEEELb0EEENSF_INS27_IiLi1EEEEEEEENS5_IJSU_SV_SW_SX_SY_SZ_S10_S11_S12_S13_S14_S15_S16_S17_S18_NST_IJLi19EEEES1G_NST_IJLi20EEEEEEENS5_IJS1A_SZ_S10_S11_S12_S1B_S1C_S1D_S1E_S15_S16_S18_S17_S1F_S1G_NST_IJLi22EEEENST_IJLi23ELi24EEEENST_IJLi25EEEEEEENST_IJLi22ELi23ELi24ELi25EEEElEENSB_INS5_IJSR_SP_SP_SR_SG_SG_S2A_S2C_EEENS5_IJSU_SV_SW_SY_SX_SZ_S11_S10_EEENS5_IJS1M_SX_SY_S1N_S11_S12_NST_IJLi9ELi10EEEENST_IJLi11EEEEEEENST_IJLi8ELi9ELi10ELi11EEEElEENS5_IJNSB_INS5_IJSK_SP_SP_NSQ_INS5_IJiNS27_IiLi2EEENS27_IiLi64EEEEEELb0EEES2X_EEENS5_IJSU_SV_SW_SX_SY_EEENS5_IJS1M_SX_SY_NST_IJLi5ELi6ELi7EEEENST_IJLi8ELi9ELi10EEEEEEENST_IJLi5ELi6ELi7ELi8ELi9ELi10EEEElEEEEES34_NS_31BlockToCTileMap_M00_N00_M01_N01ILi128ELi128ES1V_Lb0EEENS1_30ComputePtrOffsetOfStridedBatchILi1ELi1ELi1EvEELb1ELb1EEEvPKT0_S3C_T1_PT2_T3_T4_T5_iT6_T7_T8_T9_T10_T11_, .Lfunc_end8-_ZN2ck16tensor_operation6device12_GLOBAL__N_137kernel_grouped_conv_fwd_dl_multiple_dINS_32GridwiseGemmDlMultipleD_km_kn_mnILi256EffNS_5TupleIJfEEEfNS0_12element_wise11PassThroughES8_NS7_7AddReluELNS_25InMemoryDataOperationEnumE0ENS_16TensorDescriptorINS5_IJNS_5EmbedINS5_IJiiiiEEESD_Lb0EEENS_11PassThroughIiEENS_3PadIiiiLb0EEESI_SG_SG_NSC_INS5_IJiiEEESJ_Lb0EEESK_SG_NS_23Merge_v2_magic_divisionINS5_IJiiiEEEEESN_NS_8RightPadIiiLb0EEESP_NS_7UnMergeISJ_Lb0EEESG_EEENS5_IJNS_8SequenceIJLi0EEEENST_IJLi1EEEENST_IJLi2EEEENST_IJLi3EEEENST_IJLi4EEEENST_IJLi5EEEENST_IJLi6EEEENST_IJLi7EEEENST_IJLi8EEEENST_IJLi9ELi11ELi13EEEENST_IJLi10ELi12ELi14EEEENST_IJLi15EEEENST_IJLi16EEEENST_IJLi18EEEENST_IJLi17EEEEEEENS5_IJNST_IJLi1ELi2ELi3ELi4EEEESZ_S10_S11_S12_NST_IJLi9EEEENST_IJLi10ELi11EEEENST_IJLi12ELi13EEEENST_IJLi14EEEES15_S16_S18_S17_NST_IJLi19ELi20EEEENST_IJLi21EEEEEEENST_IJLi19ELi21ELi20EEEElEENSB_INS5_IJSR_SP_SP_SR_SG_EEENS5_IJSU_SV_SW_SY_SX_EEENS5_IJNST_IJLi1ELi2EEEESX_SY_NST_IJLi5ELi6EEEES11_EEENST_IJLi5ELi7ELi6EEEElEENSB_INS5_IJSK_SP_SP_EEENS5_IJSU_SV_SW_EEENS5_IJS1M_SX_SY_EEENST_IJLi3ELi4EEEElEELi128ELi128ELi16ELi1ELi4ELi4ELi1ENST_IJLi8ELi2EEEES1W_NST_IJLi8ELi1ELi1ELi1EEEENST_IJLi2ELi1ELi128ELi1EEEENST_IJLi1ELi2ELi0ELi3EEEES1Z_NST_IJLi4ELi1ELi1ELi1EEEES1Z_NST_IJLi1ELi1ELi1ELi1EEEES1X_S1Y_S1Z_S1Z_S20_S1Z_S21_NST_IJLi0ELi1ELi2ELi3ELi4ELi5EEEELi5ELi4EEEfNS5_IJPKfEEEfS8_S8_S9_NSB_INS5_IJSE_SG_SI_SI_SG_SG_SK_SK_SG_SN_SN_SP_SP_SR_SG_SG_NSQ_INS5_IJiNS_17integral_constantIiLi128EEEEEELb0EEENSF_INS27_IiLi1EEEEEEEENS5_IJSU_SV_SW_SX_SY_SZ_S10_S11_S12_S13_S14_S15_S16_S17_S18_NST_IJLi19EEEES1G_NST_IJLi20EEEEEEENS5_IJS1A_SZ_S10_S11_S12_S1B_S1C_S1D_S1E_S15_S16_S18_S17_S1F_S1G_NST_IJLi22EEEENST_IJLi23ELi24EEEENST_IJLi25EEEEEEENST_IJLi22ELi23ELi24ELi25EEEElEENSB_INS5_IJSR_SP_SP_SR_SG_SG_S2A_S2C_EEENS5_IJSU_SV_SW_SY_SX_SZ_S11_S10_EEENS5_IJS1M_SX_SY_S1N_S11_S12_NST_IJLi9ELi10EEEENST_IJLi11EEEEEEENST_IJLi8ELi9ELi10ELi11EEEElEENS5_IJNSB_INS5_IJSK_SP_SP_NSQ_INS5_IJiNS27_IiLi2EEENS27_IiLi64EEEEEELb0EEES2X_EEENS5_IJSU_SV_SW_SX_SY_EEENS5_IJS1M_SX_SY_NST_IJLi5ELi6ELi7EEEENST_IJLi8ELi9ELi10EEEEEEENST_IJLi5ELi6ELi7ELi8ELi9ELi10EEEElEEEEES34_NS_31BlockToCTileMap_M00_N00_M01_N01ILi128ELi128ES1V_Lb0EEENS1_30ComputePtrOffsetOfStridedBatchILi1ELi1ELi1EvEELb1ELb1EEEvPKT0_S3C_T1_PT2_T3_T4_T5_iT6_T7_T8_T9_T10_T11_
                                        ; -- End function
	.section	.AMDGPU.csdata,"",@progbits
; Kernel info:
; codeLenInByte = 2708
; NumSgprs: 98
; NumVgprs: 128
; NumAgprs: 14
; TotalNumVgprs: 142
; ScratchSize: 640
; MemoryBound: 0
; FloatMode: 240
; IeeeMode: 1
; LDSByteSize: 32768 bytes/workgroup (compile time only)
; SGPRBlocks: 12
; VGPRBlocks: 17
; NumSGPRsForWavesPerEU: 98
; NumVGPRsForWavesPerEU: 142
; AccumOffset: 128
; Occupancy: 2
; WaveLimiterHint : 1
; COMPUTE_PGM_RSRC2:SCRATCH_EN: 1
; COMPUTE_PGM_RSRC2:USER_SGPR: 8
; COMPUTE_PGM_RSRC2:TRAP_HANDLER: 0
; COMPUTE_PGM_RSRC2:TGID_X_EN: 1
; COMPUTE_PGM_RSRC2:TGID_Y_EN: 0
; COMPUTE_PGM_RSRC2:TGID_Z_EN: 0
; COMPUTE_PGM_RSRC2:TIDIG_COMP_CNT: 0
; COMPUTE_PGM_RSRC3_GFX90A:ACCUM_OFFSET: 31
; COMPUTE_PGM_RSRC3_GFX90A:TG_SPLIT: 0
	.text
	.p2align	2                               ; -- Begin function _ZN2ck32GridwiseGemmDlMultipleD_km_kn_mnILi256EffNS_5TupleIJfEEEfNS_16tensor_operation12element_wise11PassThroughES5_NS4_7AddReluELNS_25InMemoryDataOperationEnumE0ENS_16TensorDescriptorINS1_IJNS_5EmbedINS1_IJiiiiEEESA_Lb0EEENS_11PassThroughIiEENS_3PadIiiiLb0EEESF_SD_SD_NS9_INS1_IJiiEEESG_Lb0EEESH_SD_NS_23Merge_v2_magic_divisionINS1_IJiiiEEEEESK_NS_8RightPadIiiLb0EEESM_NS_7UnMergeISG_Lb0EEESD_EEENS1_IJNS_8SequenceIJLi0EEEENSQ_IJLi1EEEENSQ_IJLi2EEEENSQ_IJLi3EEEENSQ_IJLi4EEEENSQ_IJLi5EEEENSQ_IJLi6EEEENSQ_IJLi7EEEENSQ_IJLi8EEEENSQ_IJLi9ELi11ELi13EEEENSQ_IJLi10ELi12ELi14EEEENSQ_IJLi15EEEENSQ_IJLi16EEEENSQ_IJLi18EEEENSQ_IJLi17EEEEEEENS1_IJNSQ_IJLi1ELi2ELi3ELi4EEEESW_SX_SY_SZ_NSQ_IJLi9EEEENSQ_IJLi10ELi11EEEENSQ_IJLi12ELi13EEEENSQ_IJLi14EEEES12_S13_S15_S14_NSQ_IJLi19ELi20EEEENSQ_IJLi21EEEEEEENSQ_IJLi19ELi21ELi20EEEElEENS8_INS1_IJSO_SM_SM_SO_SD_EEENS1_IJSR_SS_ST_SV_SU_EEENS1_IJNSQ_IJLi1ELi2EEEESU_SV_NSQ_IJLi5ELi6EEEESY_EEENSQ_IJLi5ELi7ELi6EEEElEENS8_INS1_IJSH_SM_SM_EEENS1_IJSR_SS_ST_EEENS1_IJS1J_SU_SV_EEENSQ_IJLi3ELi4EEEElEELi128ELi128ELi16ELi1ELi4ELi4ELi1ENSQ_IJLi8ELi2EEEES1T_NSQ_IJLi8ELi1ELi1ELi1EEEENSQ_IJLi2ELi1ELi128ELi1EEEENSQ_IJLi1ELi2ELi0ELi3EEEES1W_NSQ_IJLi4ELi1ELi1ELi1EEEES1W_NSQ_IJLi1ELi1ELi1ELi1EEEES1U_S1V_S1W_S1W_S1X_S1W_S1Y_NSQ_IJLi0ELi1ELi2ELi3ELi4ELi5EEEELi5ELi4EE3RunINS1_IJNS8_INS1_IJSH_SM_SM_NSN_INS1_IJiNS_17integral_constantIiLi2EEENS22_IiLi64EEEEEELb0EEES26_EEENS1_IJSR_SS_ST_SU_SV_EEENS1_IJS1J_SU_SV_NSQ_IJLi5ELi6ELi7EEEENSQ_IJLi8ELi9ELi10EEEEEEENSQ_IJLi5ELi6ELi7ELi8ELi9ELi10EEEElEEEEELb1ELb0ENS_31BlockToCTileMap_M00_N00_M01_N01ILi128ELi128ES1S_Lb0EEEEEvPKfS2I_NS1_IJS2I_EEEPfPvRKS5_S2N_RKS6_RKNS8_INS1_IJSB_SD_SF_SF_SD_SD_SH_SH_SD_SK_SK_SM_SM_SO_SD_SD_NSN_INS1_IJiNS22_IiLi128EEEEEELb0EEENSC_INS22_IiLi1EEEEEEEENS1_IJSR_SS_ST_SU_SV_SW_SX_SY_SZ_S10_S11_S12_S13_S14_S15_NSQ_IJLi19EEEES1D_NSQ_IJLi20EEEEEEENS1_IJS17_SW_SX_SY_SZ_S18_S19_S1A_S1B_S12_S13_S15_S14_S1C_S1D_NSQ_IJLi22EEEENSQ_IJLi23ELi24EEEENSQ_IJLi25EEEEEEENSQ_IJLi22ELi23ELi24ELi25EEEElEERKNS8_INS1_IJSO_SM_SM_SO_SD_SD_S2S_S2U_EEENS1_IJSR_SS_ST_SV_SU_SW_SY_SX_EEENS1_IJS1J_SU_SV_S1K_SY_SZ_NSQ_IJLi9ELi10EEEENSQ_IJLi11EEEEEEENSQ_IJLi8ELi9ELi10ELi11EEEElEERKT_RKS2D_RKT2_NS22_IbXT0_EEENS22_IbXT1_EEE
	.type	_ZN2ck32GridwiseGemmDlMultipleD_km_kn_mnILi256EffNS_5TupleIJfEEEfNS_16tensor_operation12element_wise11PassThroughES5_NS4_7AddReluELNS_25InMemoryDataOperationEnumE0ENS_16TensorDescriptorINS1_IJNS_5EmbedINS1_IJiiiiEEESA_Lb0EEENS_11PassThroughIiEENS_3PadIiiiLb0EEESF_SD_SD_NS9_INS1_IJiiEEESG_Lb0EEESH_SD_NS_23Merge_v2_magic_divisionINS1_IJiiiEEEEESK_NS_8RightPadIiiLb0EEESM_NS_7UnMergeISG_Lb0EEESD_EEENS1_IJNS_8SequenceIJLi0EEEENSQ_IJLi1EEEENSQ_IJLi2EEEENSQ_IJLi3EEEENSQ_IJLi4EEEENSQ_IJLi5EEEENSQ_IJLi6EEEENSQ_IJLi7EEEENSQ_IJLi8EEEENSQ_IJLi9ELi11ELi13EEEENSQ_IJLi10ELi12ELi14EEEENSQ_IJLi15EEEENSQ_IJLi16EEEENSQ_IJLi18EEEENSQ_IJLi17EEEEEEENS1_IJNSQ_IJLi1ELi2ELi3ELi4EEEESW_SX_SY_SZ_NSQ_IJLi9EEEENSQ_IJLi10ELi11EEEENSQ_IJLi12ELi13EEEENSQ_IJLi14EEEES12_S13_S15_S14_NSQ_IJLi19ELi20EEEENSQ_IJLi21EEEEEEENSQ_IJLi19ELi21ELi20EEEElEENS8_INS1_IJSO_SM_SM_SO_SD_EEENS1_IJSR_SS_ST_SV_SU_EEENS1_IJNSQ_IJLi1ELi2EEEESU_SV_NSQ_IJLi5ELi6EEEESY_EEENSQ_IJLi5ELi7ELi6EEEElEENS8_INS1_IJSH_SM_SM_EEENS1_IJSR_SS_ST_EEENS1_IJS1J_SU_SV_EEENSQ_IJLi3ELi4EEEElEELi128ELi128ELi16ELi1ELi4ELi4ELi1ENSQ_IJLi8ELi2EEEES1T_NSQ_IJLi8ELi1ELi1ELi1EEEENSQ_IJLi2ELi1ELi128ELi1EEEENSQ_IJLi1ELi2ELi0ELi3EEEES1W_NSQ_IJLi4ELi1ELi1ELi1EEEES1W_NSQ_IJLi1ELi1ELi1ELi1EEEES1U_S1V_S1W_S1W_S1X_S1W_S1Y_NSQ_IJLi0ELi1ELi2ELi3ELi4ELi5EEEELi5ELi4EE3RunINS1_IJNS8_INS1_IJSH_SM_SM_NSN_INS1_IJiNS_17integral_constantIiLi2EEENS22_IiLi64EEEEEELb0EEES26_EEENS1_IJSR_SS_ST_SU_SV_EEENS1_IJS1J_SU_SV_NSQ_IJLi5ELi6ELi7EEEENSQ_IJLi8ELi9ELi10EEEEEEENSQ_IJLi5ELi6ELi7ELi8ELi9ELi10EEEElEEEEELb1ELb0ENS_31BlockToCTileMap_M00_N00_M01_N01ILi128ELi128ES1S_Lb0EEEEEvPKfS2I_NS1_IJS2I_EEEPfPvRKS5_S2N_RKS6_RKNS8_INS1_IJSB_SD_SF_SF_SD_SD_SH_SH_SD_SK_SK_SM_SM_SO_SD_SD_NSN_INS1_IJiNS22_IiLi128EEEEEELb0EEENSC_INS22_IiLi1EEEEEEEENS1_IJSR_SS_ST_SU_SV_SW_SX_SY_SZ_S10_S11_S12_S13_S14_S15_NSQ_IJLi19EEEES1D_NSQ_IJLi20EEEEEEENS1_IJS17_SW_SX_SY_SZ_S18_S19_S1A_S1B_S12_S13_S15_S14_S1C_S1D_NSQ_IJLi22EEEENSQ_IJLi23ELi24EEEENSQ_IJLi25EEEEEEENSQ_IJLi22ELi23ELi24ELi25EEEElEERKNS8_INS1_IJSO_SM_SM_SO_SD_SD_S2S_S2U_EEENS1_IJSR_SS_ST_SV_SU_SW_SY_SX_EEENS1_IJS1J_SU_SV_S1K_SY_SZ_NSQ_IJLi9ELi10EEEENSQ_IJLi11EEEEEEENSQ_IJLi8ELi9ELi10ELi11EEEElEERKT_RKS2D_RKT2_NS22_IbXT0_EEENS22_IbXT1_EEE,@function
_ZN2ck32GridwiseGemmDlMultipleD_km_kn_mnILi256EffNS_5TupleIJfEEEfNS_16tensor_operation12element_wise11PassThroughES5_NS4_7AddReluELNS_25InMemoryDataOperationEnumE0ENS_16TensorDescriptorINS1_IJNS_5EmbedINS1_IJiiiiEEESA_Lb0EEENS_11PassThroughIiEENS_3PadIiiiLb0EEESF_SD_SD_NS9_INS1_IJiiEEESG_Lb0EEESH_SD_NS_23Merge_v2_magic_divisionINS1_IJiiiEEEEESK_NS_8RightPadIiiLb0EEESM_NS_7UnMergeISG_Lb0EEESD_EEENS1_IJNS_8SequenceIJLi0EEEENSQ_IJLi1EEEENSQ_IJLi2EEEENSQ_IJLi3EEEENSQ_IJLi4EEEENSQ_IJLi5EEEENSQ_IJLi6EEEENSQ_IJLi7EEEENSQ_IJLi8EEEENSQ_IJLi9ELi11ELi13EEEENSQ_IJLi10ELi12ELi14EEEENSQ_IJLi15EEEENSQ_IJLi16EEEENSQ_IJLi18EEEENSQ_IJLi17EEEEEEENS1_IJNSQ_IJLi1ELi2ELi3ELi4EEEESW_SX_SY_SZ_NSQ_IJLi9EEEENSQ_IJLi10ELi11EEEENSQ_IJLi12ELi13EEEENSQ_IJLi14EEEES12_S13_S15_S14_NSQ_IJLi19ELi20EEEENSQ_IJLi21EEEEEEENSQ_IJLi19ELi21ELi20EEEElEENS8_INS1_IJSO_SM_SM_SO_SD_EEENS1_IJSR_SS_ST_SV_SU_EEENS1_IJNSQ_IJLi1ELi2EEEESU_SV_NSQ_IJLi5ELi6EEEESY_EEENSQ_IJLi5ELi7ELi6EEEElEENS8_INS1_IJSH_SM_SM_EEENS1_IJSR_SS_ST_EEENS1_IJS1J_SU_SV_EEENSQ_IJLi3ELi4EEEElEELi128ELi128ELi16ELi1ELi4ELi4ELi1ENSQ_IJLi8ELi2EEEES1T_NSQ_IJLi8ELi1ELi1ELi1EEEENSQ_IJLi2ELi1ELi128ELi1EEEENSQ_IJLi1ELi2ELi0ELi3EEEES1W_NSQ_IJLi4ELi1ELi1ELi1EEEES1W_NSQ_IJLi1ELi1ELi1ELi1EEEES1U_S1V_S1W_S1W_S1X_S1W_S1Y_NSQ_IJLi0ELi1ELi2ELi3ELi4ELi5EEEELi5ELi4EE3RunINS1_IJNS8_INS1_IJSH_SM_SM_NSN_INS1_IJiNS_17integral_constantIiLi2EEENS22_IiLi64EEEEEELb0EEES26_EEENS1_IJSR_SS_ST_SU_SV_EEENS1_IJS1J_SU_SV_NSQ_IJLi5ELi6ELi7EEEENSQ_IJLi8ELi9ELi10EEEEEEENSQ_IJLi5ELi6ELi7ELi8ELi9ELi10EEEElEEEEELb1ELb0ENS_31BlockToCTileMap_M00_N00_M01_N01ILi128ELi128ES1S_Lb0EEEEEvPKfS2I_NS1_IJS2I_EEEPfPvRKS5_S2N_RKS6_RKNS8_INS1_IJSB_SD_SF_SF_SD_SD_SH_SH_SD_SK_SK_SM_SM_SO_SD_SD_NSN_INS1_IJiNS22_IiLi128EEEEEELb0EEENSC_INS22_IiLi1EEEEEEEENS1_IJSR_SS_ST_SU_SV_SW_SX_SY_SZ_S10_S11_S12_S13_S14_S15_NSQ_IJLi19EEEES1D_NSQ_IJLi20EEEEEEENS1_IJS17_SW_SX_SY_SZ_S18_S19_S1A_S1B_S12_S13_S15_S14_S1C_S1D_NSQ_IJLi22EEEENSQ_IJLi23ELi24EEEENSQ_IJLi25EEEEEEENSQ_IJLi22ELi23ELi24ELi25EEEElEERKNS8_INS1_IJSO_SM_SM_SO_SD_SD_S2S_S2U_EEENS1_IJSR_SS_ST_SV_SU_SW_SY_SX_EEENS1_IJS1J_SU_SV_S1K_SY_SZ_NSQ_IJLi9ELi10EEEENSQ_IJLi11EEEEEEENSQ_IJLi8ELi9ELi10ELi11EEEElEERKT_RKS2D_RKT2_NS22_IbXT0_EEENS22_IbXT1_EEE: ; @_ZN2ck32GridwiseGemmDlMultipleD_km_kn_mnILi256EffNS_5TupleIJfEEEfNS_16tensor_operation12element_wise11PassThroughES5_NS4_7AddReluELNS_25InMemoryDataOperationEnumE0ENS_16TensorDescriptorINS1_IJNS_5EmbedINS1_IJiiiiEEESA_Lb0EEENS_11PassThroughIiEENS_3PadIiiiLb0EEESF_SD_SD_NS9_INS1_IJiiEEESG_Lb0EEESH_SD_NS_23Merge_v2_magic_divisionINS1_IJiiiEEEEESK_NS_8RightPadIiiLb0EEESM_NS_7UnMergeISG_Lb0EEESD_EEENS1_IJNS_8SequenceIJLi0EEEENSQ_IJLi1EEEENSQ_IJLi2EEEENSQ_IJLi3EEEENSQ_IJLi4EEEENSQ_IJLi5EEEENSQ_IJLi6EEEENSQ_IJLi7EEEENSQ_IJLi8EEEENSQ_IJLi9ELi11ELi13EEEENSQ_IJLi10ELi12ELi14EEEENSQ_IJLi15EEEENSQ_IJLi16EEEENSQ_IJLi18EEEENSQ_IJLi17EEEEEEENS1_IJNSQ_IJLi1ELi2ELi3ELi4EEEESW_SX_SY_SZ_NSQ_IJLi9EEEENSQ_IJLi10ELi11EEEENSQ_IJLi12ELi13EEEENSQ_IJLi14EEEES12_S13_S15_S14_NSQ_IJLi19ELi20EEEENSQ_IJLi21EEEEEEENSQ_IJLi19ELi21ELi20EEEElEENS8_INS1_IJSO_SM_SM_SO_SD_EEENS1_IJSR_SS_ST_SV_SU_EEENS1_IJNSQ_IJLi1ELi2EEEESU_SV_NSQ_IJLi5ELi6EEEESY_EEENSQ_IJLi5ELi7ELi6EEEElEENS8_INS1_IJSH_SM_SM_EEENS1_IJSR_SS_ST_EEENS1_IJS1J_SU_SV_EEENSQ_IJLi3ELi4EEEElEELi128ELi128ELi16ELi1ELi4ELi4ELi1ENSQ_IJLi8ELi2EEEES1T_NSQ_IJLi8ELi1ELi1ELi1EEEENSQ_IJLi2ELi1ELi128ELi1EEEENSQ_IJLi1ELi2ELi0ELi3EEEES1W_NSQ_IJLi4ELi1ELi1ELi1EEEES1W_NSQ_IJLi1ELi1ELi1ELi1EEEES1U_S1V_S1W_S1W_S1X_S1W_S1Y_NSQ_IJLi0ELi1ELi2ELi3ELi4ELi5EEEELi5ELi4EE3RunINS1_IJNS8_INS1_IJSH_SM_SM_NSN_INS1_IJiNS_17integral_constantIiLi2EEENS22_IiLi64EEEEEELb0EEES26_EEENS1_IJSR_SS_ST_SU_SV_EEENS1_IJS1J_SU_SV_NSQ_IJLi5ELi6ELi7EEEENSQ_IJLi8ELi9ELi10EEEEEEENSQ_IJLi5ELi6ELi7ELi8ELi9ELi10EEEElEEEEELb1ELb0ENS_31BlockToCTileMap_M00_N00_M01_N01ILi128ELi128ES1S_Lb0EEEEEvPKfS2I_NS1_IJS2I_EEEPfPvRKS5_S2N_RKS6_RKNS8_INS1_IJSB_SD_SF_SF_SD_SD_SH_SH_SD_SK_SK_SM_SM_SO_SD_SD_NSN_INS1_IJiNS22_IiLi128EEEEEELb0EEENSC_INS22_IiLi1EEEEEEEENS1_IJSR_SS_ST_SU_SV_SW_SX_SY_SZ_S10_S11_S12_S13_S14_S15_NSQ_IJLi19EEEES1D_NSQ_IJLi20EEEEEEENS1_IJS17_SW_SX_SY_SZ_S18_S19_S1A_S1B_S12_S13_S15_S14_S1C_S1D_NSQ_IJLi22EEEENSQ_IJLi23ELi24EEEENSQ_IJLi25EEEEEEENSQ_IJLi22ELi23ELi24ELi25EEEElEERKNS8_INS1_IJSO_SM_SM_SO_SD_SD_S2S_S2U_EEENS1_IJSR_SS_ST_SV_SU_SW_SY_SX_EEENS1_IJS1J_SU_SV_S1K_SY_SZ_NSQ_IJLi9ELi10EEEENSQ_IJLi11EEEEEEENSQ_IJLi8ELi9ELi10ELi11EEEElEERKT_RKS2D_RKT2_NS22_IbXT0_EEENS22_IbXT1_EEE
; %bb.0:
	s_waitcnt vmcnt(0) expcnt(0) lgkmcnt(0)
	v_accvgpr_write_b32 a4, v12
	v_accvgpr_write_b32 a5, v13
	v_mov_b32_e32 v19, v5
	v_mov_b32_e32 v18, v4
	flat_load_dwordx4 v[20:23], v[16:17] offset:68
	flat_load_dword v4, v[8:9] offset:216
	flat_load_dwordx2 v[28:29], v[8:9] offset:160
	flat_load_dword v5, v[8:9] offset:256
	flat_load_dword v98, v[8:9] offset:200
	flat_load_dwordx4 v[48:51], v[16:17] offset:88
	flat_load_dwordx4 v[36:39], v[16:17] offset:48
	flat_load_dwordx2 v[66:67], v[8:9] offset:172
	flat_load_dwordx2 v[64:65], v[8:9] offset:148
	;; [unrolled: 1-line block ×3, first 2 shown]
	flat_load_dword v13, v[16:17] offset:36
	flat_load_dword v85, v[16:17] offset:20
	flat_load_dwordx2 v[80:81], v[8:9] offset:120
	flat_load_dword v86, v[8:9] offset:188
	flat_load_dwordx2 v[68:69], v[8:9] offset:132
                                        ; kill: killed $vgpr16 killed $vgpr17
	flat_load_dwordx2 v[70:71], v[8:9] offset:108
	flat_load_dwordx2 v[54:55], v[8:9] offset:92
	flat_load_dwordx4 v[32:35], v[8:9] offset:16
	flat_load_dwordx4 v[24:27], v[8:9] offset:36
	s_nop 0
	flat_load_dwordx2 v[16:17], v[8:9] offset:52
	flat_load_dword v84, v[10:11] offset:88
	flat_load_dword v83, v[10:11] offset:48
	;; [unrolled: 1-line block ×3, first 2 shown]
	flat_load_dwordx2 a[2:3], v[14:15] offset:72
	v_and_b32_e32 v12, 0x3ff, v31
	v_accvgpr_write_b32 a0, v14
	v_accvgpr_write_b32 a1, v15
	v_lshrrev_b32_e32 v14, 5, v12
	v_lshlrev_b32_e32 v30, 1, v12
	v_lshlrev_b32_e32 v31, 2, v12
	v_lshrrev_b32_e32 v82, 1, v12
	v_lshlrev_b32_e32 v12, 3, v12
	v_lshlrev_b32_e32 v96, 6, v14
	v_and_b32_e32 v97, 0x1f8, v30
	v_and_b32_e32 v93, 8, v12
	v_sub_u32_e32 v12, v97, v96
	v_and_b32_e32 v30, 0x1fc, v30
	v_and_or_b32 v95, v31, 4, v12
	v_sub_u32_e32 v30, v30, v97
	v_lshl_add_u32 v94, v14, 3, v30
	v_mov_b32_e32 v79, 0x20000
	s_mov_b32 s26, 0
	s_waitcnt vmcnt(0) lgkmcnt(0)
	v_mul_hi_u32 v12, v23, s12
	v_mul_lo_u32 v23, v4, v93
	v_add_u32_e32 v12, s12, v12
	v_mul_hi_u32 v14, v23, v29
	v_cmp_lt_i32_e64 s[4:5], v23, v98
	v_lshrrev_b32_e32 v30, v51, v12
	v_add_u32_e32 v12, v23, v14
	v_mul_hi_u32 v14, v30, v22
	v_mul_lo_u32 v22, v30, v39
	v_lshrrev_b32_e32 v39, v67, v12
	v_add_u32_e32 v12, v30, v14
	v_lshrrev_b32_e32 v31, v50, v12
	v_mul_hi_u32 v21, v31, v21
	v_sub_u32_e32 v14, s12, v22
	v_mul_hi_u32 v22, v39, v28
	v_add_u32_e32 v21, v31, v21
	v_add_u32_e32 v12, v39, v22
	v_mul_lo_u32 v22, v31, v38
	v_lshrrev_b32_e32 v38, v49, v21
	v_mul_hi_u32 v20, v38, v20
	v_mul_lo_u32 v21, v38, v37
	v_add_u32_e32 v20, v38, v20
	v_sub_u32_e32 v21, v31, v21
	v_lshrrev_b32_e32 v31, v48, v20
	v_mad_u64_u32 v[20:21], s[6:7], v21, v13, v[14:15]
	v_mul_lo_u32 v13, v31, v36
	v_sub_u32_e32 v22, v30, v22
	v_sub_u32_e32 v13, v38, v13
	v_readfirstlane_b32 s24, v20
	v_mad_u64_u32 v[20:21], s[6:7], v13, v85, v[22:23]
	v_readfirstlane_b32 s25, v20
	v_lshl_or_b32 v15, s25, 7, v82
	v_mul_hi_u32 v13, v81, v15
	v_add_u32_e32 v13, v15, v13
	v_lshrrev_b32_e32 v13, v69, v13
	v_mul_hi_u32 v14, v13, v80
	v_mul_lo_u32 v20, v13, v71
	v_add_u32_e32 v14, v13, v14
	v_lshrrev_b32_e32 v12, v66, v12
	v_sub_u32_e32 v20, v15, v20
	v_lshrrev_b32_e32 v21, v68, v14
	v_mul_lo_u32 v22, v21, v70
	v_mul_lo_u32 v14, v20, v55
	v_mul_lo_u32 v20, v12, v64
	v_mul_lo_u32 v30, v52, v12
	v_sub_u32_e32 v13, v13, v22
	v_sub_u32_e32 v48, v39, v20
	v_mad_u64_u32 v[30:31], s[6:7], v13, v53, v[30:31]
	v_mad_u64_u32 v[36:37], s[6:7], v48, v54, v[14:15]
	v_mul_lo_u32 v51, v39, v65
	v_sub_u32_e32 v13, v30, v25
	v_sub_u32_e32 v14, v36, v16
	v_mul_lo_u32 v22, v13, v33
	v_sub_u32_e32 v13, v23, v51
	v_mul_lo_u32 v14, v14, v34
	v_mul_lo_u32 v32, v21, v32
	v_mad_u64_u32 v[20:21], s[6:7], v35, v13, v[14:15]
	v_sub_u32_e32 v38, v27, v17
	v_sub_u32_e32 v17, v24, v26
	v_cmp_ge_i32_e64 s[6:7], v30, v25
	v_cmp_gt_i32_e64 s[8:9], v17, v30
	s_and_b64 s[10:11], s[6:7], s[8:9]
	v_cmp_ge_i32_e64 s[6:7], v36, v16
	v_cmp_gt_i32_e64 s[8:9], v38, v36
	s_and_b64 s[6:7], s[6:7], s[8:9]
	s_and_b64 s[4:5], s[4:5], s[6:7]
	v_cmp_lt_i32_e32 vcc, v15, v86
	v_add3_u32 v39, v20, v32, v22
	v_lshlrev_b32_e32 v78, 2, v5
	s_and_b64 s[4:5], s[4:5], s[10:11]
	v_lshl_or_b32 v5, s24, 7, v82
	v_mul_lo_u32 v24, v83, v93
	v_accvgpr_write_b32 a7, v15
	s_and_b64 s[4:5], vcc, s[4:5]
	s_mov_b64 s[10:11], exec
	v_accvgpr_write_b32 a8, v5
	v_mad_u64_u32 v[26:27], s[6:7], v87, v5, v[24:25]
	v_or_b32_e32 v5, 4, v93
	v_lshlrev_b32_e32 v14, 2, v39
.LBB9_1:                                ; =>This Inner Loop Header: Depth=1
	v_readfirstlane_b32 s12, v0
	v_readfirstlane_b32 s13, v1
	;; [unrolled: 1-line block ×4, first 2 shown]
	v_cmp_eq_u64_e64 s[6:7], s[12:13], v[0:1]
	v_cmp_eq_u64_e64 s[8:9], s[14:15], v[78:79]
	s_and_b64 s[6:7], s[6:7], s[8:9]
	s_and_saveexec_b64 s[6:7], s[6:7]
	s_nop 0
	buffer_load_dwordx4 v[20:23], v14, s[12:15], 0 offen
                                        ; implicit-def: $vgpr14
	s_xor_b64 exec, exec, s[6:7]
	s_cbranch_execnz .LBB9_1
; %bb.2:
	s_mov_b64 exec, s[10:11]
	v_mul_lo_u32 v14, v4, v5
	v_mul_hi_u32 v4, v29, v14
	v_add_u32_e32 v4, v14, v4
	v_lshrrev_b32_e32 v5, v67, v4
	v_mul_hi_u32 v4, v5, v28
	v_add_u32_e32 v4, v5, v4
	v_lshrrev_b32_e32 v4, v66, v4
	s_waitcnt vmcnt(0)
	v_cndmask_b32_e64 v32, 0, v21, s[4:5]
	v_cndmask_b32_e64 v37, 0, v20, s[4:5]
	v_mul_lo_u32 v20, v4, v64
	v_mul_lo_u32 v21, v5, v65
	v_sub_u32_e32 v90, v5, v20
	v_sub_u32_e32 v5, v14, v21
	;; [unrolled: 1-line block ×5, first 2 shown]
	v_cndmask_b32_e64 v31, 0, v22, s[4:5]
	v_mul_lo_u32 v22, v13, v54
	v_mul_lo_u32 v20, v52, v20
	v_add_u32_e32 v12, v22, v36
	v_add_u32_e32 v13, v30, v20
	v_mul_lo_u32 v20, v20, v33
	v_cndmask_b32_e64 v27, 0, v23, s[4:5]
	v_mul_lo_u32 v23, v35, v21
	v_mad_u64_u32 v[20:21], s[4:5], v22, v34, v[20:21]
	v_cmp_le_i32_e64 s[6:7], v16, v12
	v_cmp_gt_i32_e64 s[8:9], v38, v12
	v_cmp_lt_i32_e64 s[4:5], v14, v98
	s_and_b64 s[6:7], s[6:7], s[8:9]
	s_and_b64 s[8:9], s[4:5], s[6:7]
	v_cmp_le_i32_e64 s[4:5], v25, v13
	v_cmp_gt_i32_e64 s[6:7], v17, v13
	s_and_b64 s[4:5], s[4:5], s[6:7]
	v_add3_u32 v92, v20, v23, v39
	s_and_b64 s[4:5], s[8:9], s[4:5]
	v_lshlrev_b32_e32 v28, 2, v92
	s_and_b64 vcc, vcc, s[4:5]
	s_mov_b64 s[12:13], exec
.LBB9_3:                                ; =>This Inner Loop Header: Depth=1
	v_readfirstlane_b32 s8, v0
	v_readfirstlane_b32 s9, v1
	;; [unrolled: 1-line block ×4, first 2 shown]
	v_cmp_eq_u64_e64 s[4:5], s[8:9], v[0:1]
	v_cmp_eq_u64_e64 s[6:7], s[10:11], v[78:79]
	s_and_b64 s[4:5], s[4:5], s[6:7]
	s_and_saveexec_b64 s[4:5], s[4:5]
	s_nop 0
	buffer_load_dwordx4 v[20:23], v28, s[8:11], 0 offen
                                        ; implicit-def: $vgpr28
	s_xor_b64 exec, exec, s[4:5]
	s_cbranch_execnz .LBB9_3
; %bb.4:
	s_mov_b64 exec, s[12:13]
	flat_load_dword v16, v[10:11] offset:32
	flat_load_dword v17, v[10:11] offset:20
	s_waitcnt vmcnt(0)
	v_cndmask_b32_e32 v30, 0, v20, vcc
	v_accvgpr_read_b32 v20, a8
	v_cndmask_b32_e32 v25, 0, v23, vcc
	v_cndmask_b32_e32 v28, 0, v22, vcc
	v_cndmask_b32_e32 v29, 0, v21, vcc
	v_lshlrev_b32_e32 v88, 2, v84
	v_mov_b32_e32 v89, 0x20000
	v_lshlrev_b32_e32 v15, 2, v26
	s_mov_b64 s[10:11], exec
	s_waitcnt lgkmcnt(0)
	v_cmp_gt_i32_e64 s[4:5], v16, v24
	v_cmp_gt_i32_e32 vcc, v17, v20
	s_and_b64 s[4:5], vcc, s[4:5]
.LBB9_5:                                ; =>This Inner Loop Header: Depth=1
	v_readfirstlane_b32 s12, v2
	v_readfirstlane_b32 s13, v3
	;; [unrolled: 1-line block ×4, first 2 shown]
	v_cmp_eq_u64_e64 s[6:7], s[12:13], v[2:3]
	v_cmp_eq_u64_e64 s[8:9], s[14:15], v[88:89]
	s_and_b64 s[6:7], s[6:7], s[8:9]
	s_and_saveexec_b64 s[6:7], s[6:7]
	s_nop 0
	buffer_load_dwordx4 v[20:23], v15, s[12:15], 0 offen
                                        ; implicit-def: $vgpr15
	s_xor_b64 exec, exec, s[6:7]
	s_cbranch_execnz .LBB9_5
; %bb.6:
	s_mov_b64 exec, s[10:11]
	v_lshlrev_b32_e32 v17, 2, v83
	v_add_u32_e32 v15, v17, v24
	s_waitcnt vmcnt(0)
	v_cndmask_b32_e64 v33, 0, v23, s[4:5]
	v_cndmask_b32_e64 v34, 0, v22, s[4:5]
	;; [unrolled: 1-line block ×4, first 2 shown]
	v_add_u32_e32 v91, v26, v17
	v_cmp_gt_i32_e64 s[4:5], v16, v15
	v_lshlrev_b32_e32 v17, 2, v91
	s_and_b64 vcc, vcc, s[4:5]
	s_mov_b64 s[12:13], exec
.LBB9_7:                                ; =>This Inner Loop Header: Depth=1
	v_readfirstlane_b32 s8, v2
	v_readfirstlane_b32 s9, v3
	;; [unrolled: 1-line block ×4, first 2 shown]
	v_cmp_eq_u64_e64 s[4:5], s[8:9], v[2:3]
	v_cmp_eq_u64_e64 s[6:7], s[10:11], v[88:89]
	s_and_b64 s[4:5], s[4:5], s[6:7]
	s_and_saveexec_b64 s[4:5], s[4:5]
	s_nop 0
	buffer_load_dwordx4 v[20:23], v17, s[8:11], 0 offen
                                        ; implicit-def: $vgpr17
	s_xor_b64 exec, exec, s[4:5]
	s_cbranch_execnz .LBB9_7
; %bb.8:
	s_mov_b64 exec, s[12:13]
	flat_load_dword v24, v[8:9] offset:228
	v_lshlrev_b32_e32 v26, 2, v82
	s_waitcnt vmcnt(0)
	v_cndmask_b32_e32 v20, 0, v20, vcc
	v_lshl_or_b32 v106, v93, 9, v26
	v_cndmask_b32_e32 v23, 0, v23, vcc
	v_cndmask_b32_e32 v22, 0, v22, vcc
	;; [unrolled: 1-line block ×3, first 2 shown]
	ds_write2st64_b32 v106, v37, v32 offset1:2
	ds_write2st64_b32 v106, v31, v27 offset0:4 offset1:6
	ds_write2st64_b32 v106, v30, v29 offset0:8 offset1:10
	;; [unrolled: 1-line block ×7, first 2 shown]
	s_mov_b64 s[20:21], 0
	v_mov_b32_e32 v60, 0
	v_mov_b32_e32 v61, 0
	;; [unrolled: 1-line block ×64, first 2 shown]
	v_accvgpr_write_b32 a6, v94
	v_lshlrev_b32_e32 v94, 2, v94
	v_accvgpr_write_b32 a3, v95
	v_lshlrev_b32_e32 v95, 2, v95
	v_mov_b32_e32 v93, v14
	s_waitcnt lgkmcnt(0)
	v_subrev_u32_e32 v20, 32, v24
	v_accvgpr_write_b32 a9, v20
	v_or_b32_e32 v20, 0x4000, v106
	v_accvgpr_write_b32 a10, v20
	v_or_b32_e32 v20, 0x2000, v106
	;; [unrolled: 2-line block ×3, first 2 shown]
	v_accvgpr_write_b32 a12, v20
.LBB9_9:                                ; =>This Loop Header: Depth=1
                                        ;     Child Loop BB9_10 Depth 2
                                        ;     Child Loop BB9_12 Depth 2
                                        ;     Child Loop BB9_14 Depth 2
                                        ;     Child Loop BB9_16 Depth 2
                                        ;     Child Loop BB9_18 Depth 2
                                        ;     Child Loop BB9_20 Depth 2
                                        ;     Child Loop BB9_22 Depth 2
                                        ;     Child Loop BB9_24 Depth 2
	flat_load_dword v36, v[8:9] offset:216
	flat_load_dword v105, v[10:11] offset:48
	;; [unrolled: 1-line block ×3, first 2 shown]
	flat_load_dwordx4 v[20:23], v[8:9] offset:36
	flat_load_dwordx2 v[30:31], v[8:9] offset:52
	flat_load_dword v37, v[10:11] offset:20
	flat_load_dwordx2 v[24:25], v[8:9] offset:160
	flat_load_dword v109, v[8:9] offset:200
	flat_load_dword v107, v[10:11] offset:32
	flat_load_dwordx2 v[32:33], v[8:9] offset:172
	flat_load_dwordx2 v[34:35], v[8:9] offset:148
	flat_load_dwordx3 v[26:28], v[8:9] offset:20
	flat_load_dword v38, v[8:9] offset:92
	flat_load_dword v104, v[8:9] offset:76
	v_accvgpr_read_b32 v110, a7
	s_mov_b64 s[22:23], exec
	s_waitcnt vmcnt(0) lgkmcnt(0)
	v_mul_lo_u32 v39, v36, 12
	v_mul_lo_u32 v108, v105, 12
	v_cmp_lt_i32_e32 vcc, v110, v29
	v_sub_u32_e32 v29, v20, v22
	v_sub_u32_e32 v31, v23, v31
	v_lshlrev_b32_e32 v20, 2, v36
	v_accvgpr_read_b32 v22, a8
	v_add_u32_e32 v23, v39, v14
	v_cmp_gt_i32_e64 s[8:9], v37, v22
	v_add_u32_e32 v22, v39, v93
	v_mul_hi_u32 v14, v23, v25
	v_add_u32_e32 v111, v20, v23
	v_add_u32_e32 v39, v20, v22
	;; [unrolled: 1-line block ×3, first 2 shown]
	v_mul_hi_u32 v20, v111, v25
	v_add_u32_e32 v93, v108, v15
	v_lshrrev_b32_e32 v15, v33, v14
	v_add_u32_e32 v14, v111, v20
	v_cmp_lt_i32_e64 s[6:7], v22, v109
	v_mul_lo_u32 v20, v15, v35
	v_mul_hi_u32 v22, v15, v24
	v_lshrrev_b32_e32 v14, v33, v14
	v_sub_u32_e32 v23, v23, v20
	v_add_u32_e32 v20, v15, v22
	v_mul_lo_u32 v22, v14, v35
	v_add_u32_e32 v91, v108, v91
	v_cmp_gt_i32_e64 s[10:11], v107, v93
	v_mul_hi_u32 v24, v14, v24
	v_sub_u32_e32 v25, v23, v5
	v_sub_u32_e32 v5, v111, v22
	v_lshlrev_b32_e32 v108, 2, v91
	v_cmp_lt_i32_e64 s[4:5], v39, v109
	s_and_b64 s[10:11], s[8:9], s[10:11]
	v_add_u32_e32 v33, v14, v24
	v_mad_u64_u32 v[36:37], s[12:13], v28, v25, v[92:93]
	v_sub_u32_e32 v35, v5, v23
.LBB9_10:                               ;   Parent Loop BB9_9 Depth=1
                                        ; =>  This Inner Loop Header: Depth=2
	v_readfirstlane_b32 s16, v2
	v_readfirstlane_b32 s17, v3
	;; [unrolled: 1-line block ×4, first 2 shown]
	v_cmp_eq_u64_e64 s[12:13], s[16:17], v[2:3]
	v_cmp_eq_u64_e64 s[14:15], s[18:19], v[88:89]
	s_and_b64 s[12:13], s[12:13], s[14:15]
	s_and_saveexec_b64 s[12:13], s[12:13]
	s_nop 0
	buffer_load_dwordx4 v[22:25], v108, s[16:19], 0 offen
                                        ; implicit-def: $vgpr108
	s_xor_b64 exec, exec, s[12:13]
	s_cbranch_execnz .LBB9_10
; %bb.11:                               ;   in Loop: Header=BB9_9 Depth=1
	s_mov_b64 exec, s[22:23]
	s_waitcnt vmcnt(0)
	v_cndmask_b32_e64 v124, 0, v22, s[10:11]
	v_lshlrev_b32_e32 v22, 2, v105
	v_add_u32_e32 v92, v22, v93
	v_cndmask_b32_e64 v121, 0, v25, s[10:11]
	v_cndmask_b32_e64 v122, 0, v24, s[10:11]
	;; [unrolled: 1-line block ×3, first 2 shown]
	v_add_u32_e32 v120, v22, v91
	v_cmp_gt_i32_e64 s[10:11], v107, v92
	v_lshlrev_b32_e32 v37, 2, v120
	s_and_b64 s[8:9], s[8:9], s[10:11]
	s_mov_b64 s[14:15], exec
.LBB9_12:                               ;   Parent Loop BB9_9 Depth=1
                                        ; =>  This Inner Loop Header: Depth=2
	v_readfirstlane_b32 s16, v2
	v_readfirstlane_b32 s17, v3
	;; [unrolled: 1-line block ×4, first 2 shown]
	v_cmp_eq_u64_e64 s[10:11], s[16:17], v[2:3]
	v_cmp_eq_u64_e64 s[12:13], s[18:19], v[88:89]
	s_and_b64 s[10:11], s[10:11], s[12:13]
	s_and_saveexec_b64 s[10:11], s[10:11]
	s_nop 0
	buffer_load_dwordx4 v[22:25], v37, s[16:19], 0 offen
                                        ; implicit-def: $vgpr37
	s_xor_b64 exec, exec, s[10:11]
	s_cbranch_execnz .LBB9_12
; %bb.13:                               ;   in Loop: Header=BB9_9 Depth=1
	s_mov_b64 exec, s[14:15]
	v_lshrrev_b32_e32 v37, v32, v20
	v_mul_lo_u32 v20, v37, v34
	v_sub_u32_e32 v107, v15, v20
	v_sub_u32_e32 v15, v107, v90
	v_mul_lo_u32 v15, v15, v38
	v_sub_u32_e32 v4, v37, v4
	v_add_u32_e32 v90, v15, v12
	s_waitcnt vmcnt(0)
	v_cndmask_b32_e64 v125, 0, v25, s[8:9]
	v_cndmask_b32_e64 v126, 0, v24, s[8:9]
	;; [unrolled: 1-line block ×4, first 2 shown]
	v_mul_lo_u32 v4, v4, v104
	v_cmp_le_i32_e64 s[8:9], v30, v90
	v_cmp_gt_i32_e64 s[10:11], v31, v90
	v_add_u32_e32 v108, v4, v13
	s_and_b64 s[8:9], s[8:9], s[10:11]
	s_and_b64 s[10:11], s[6:7], s[8:9]
	v_cmp_le_i32_e64 s[6:7], v21, v108
	v_cmp_gt_i32_e64 s[8:9], v29, v108
	v_mul_lo_u32 v4, v4, v26
	v_mul_lo_u32 v12, v15, v27
	s_and_b64 s[6:7], s[6:7], s[8:9]
	v_add3_u32 v20, v36, v4, v12
	s_and_b64 s[6:7], s[10:11], s[6:7]
	s_and_b64 s[6:7], vcc, s[6:7]
	v_lshlrev_b32_e32 v4, 2, v20
	s_mov_b64 s[16:17], exec
.LBB9_14:                               ;   Parent Loop BB9_9 Depth=1
                                        ; =>  This Inner Loop Header: Depth=2
	v_readfirstlane_b32 s12, v0
	v_readfirstlane_b32 s13, v1
	;; [unrolled: 1-line block ×4, first 2 shown]
	v_cmp_eq_u64_e64 s[8:9], s[12:13], v[0:1]
	v_cmp_eq_u64_e64 s[10:11], s[14:15], v[78:79]
	s_and_b64 s[8:9], s[8:9], s[10:11]
	s_and_saveexec_b64 s[8:9], s[8:9]
	s_nop 0
	buffer_load_dwordx4 v[22:25], v4, s[12:15], 0 offen
                                        ; implicit-def: $vgpr4
	s_xor_b64 exec, exec, s[8:9]
	s_cbranch_execnz .LBB9_14
; %bb.15:                               ;   in Loop: Header=BB9_9 Depth=1
	s_mov_b64 exec, s[16:17]
	v_lshrrev_b32_e32 v93, v32, v33
	v_mul_lo_u32 v4, v93, v34
	v_sub_u32_e32 v4, v14, v4
	v_sub_u32_e32 v14, v4, v107
	v_mul_lo_u32 v14, v14, v38
	s_waitcnt vmcnt(0)
	v_cndmask_b32_e64 v12, 0, v25, s[6:7]
	v_cndmask_b32_e64 v105, 0, v24, s[6:7]
	;; [unrolled: 1-line block ×4, first 2 shown]
	v_mad_u64_u32 v[22:23], s[6:7], v28, v35, v[20:21]
	v_sub_u32_e32 v20, v93, v37
	v_add_u32_e32 v90, v14, v90
	v_mul_lo_u32 v20, v20, v104
	v_cmp_le_i32_e64 s[6:7], v30, v90
	v_cmp_gt_i32_e64 s[8:9], v31, v90
	v_add_u32_e32 v107, v20, v108
	s_and_b64 s[6:7], s[6:7], s[8:9]
	s_and_b64 s[8:9], s[4:5], s[6:7]
	v_cmp_le_i32_e64 s[4:5], v21, v107
	v_cmp_gt_i32_e64 s[6:7], v29, v107
	v_mul_lo_u32 v20, v20, v26
	v_mul_lo_u32 v14, v14, v27
	s_and_b64 s[4:5], s[4:5], s[6:7]
	v_add3_u32 v38, v22, v20, v14
	s_and_b64 s[4:5], s[4:5], s[8:9]
	v_lshlrev_b32_e32 v14, 2, v38
	s_and_b64 vcc, vcc, s[4:5]
	s_mov_b64 s[12:13], exec
.LBB9_16:                               ;   Parent Loop BB9_9 Depth=1
                                        ; =>  This Inner Loop Header: Depth=2
	v_readfirstlane_b32 s8, v0
	v_readfirstlane_b32 s9, v1
	;; [unrolled: 1-line block ×4, first 2 shown]
	v_cmp_eq_u64_e64 s[4:5], s[8:9], v[0:1]
	v_cmp_eq_u64_e64 s[6:7], s[10:11], v[78:79]
	s_and_b64 s[4:5], s[4:5], s[6:7]
	s_and_saveexec_b64 s[4:5], s[4:5]
	s_nop 0
	buffer_load_dwordx4 v[20:23], v14, s[8:11], 0 offen
                                        ; implicit-def: $vgpr14
	s_xor_b64 exec, exec, s[4:5]
	s_cbranch_execnz .LBB9_16
; %bb.17:                               ;   in Loop: Header=BB9_9 Depth=1
	s_mov_b64 exec, s[12:13]
	s_waitcnt lgkmcnt(0)
	s_barrier
	ds_read_b128 v[26:29], v94
	ds_read_b128 v[30:33], v95 offset:16384
	s_waitcnt vmcnt(0)
	v_cndmask_b32_e32 v14, 0, v23, vcc
	v_cndmask_b32_e32 v104, 0, v22, vcc
	ds_read_b128 v[22:25], v95 offset:16640
	ds_read_b128 v[34:37], v94 offset:256
	s_waitcnt lgkmcnt(2)
	;;#ASMSTART
	
             v_fmac_f32 v50, v26, v30 
             
	;;#ASMEND
	;;#ASMSTART
	
             v_fmac_f32 v51, v26, v31 
             
	;;#ASMEND
	;; [unrolled: 5-line block ×16, first 2 shown]
	s_waitcnt lgkmcnt(1)
	;;#ASMSTART
	
             v_fmac_f32 v54, v26, v22 
             
	;;#ASMEND
	;;#ASMSTART
	
             v_fmac_f32 v55, v26, v23 
             
	;;#ASMEND
	;;#ASMSTART
	
             v_fmac_f32 v52, v26, v24 
             
	;;#ASMEND
	;;#ASMSTART
	
             v_fmac_f32 v53, v26, v25 
             
	;;#ASMEND
	;;#ASMSTART
	
             v_fmac_f32 v82, v27, v22 
             
	;;#ASMEND
	;;#ASMSTART
	
             v_fmac_f32 v83, v27, v23 
             
	;;#ASMEND
	;;#ASMSTART
	
             v_fmac_f32 v80, v27, v24 
             
	;;#ASMEND
	;;#ASMSTART
	
             v_fmac_f32 v81, v27, v25 
             
	;;#ASMEND
	;;#ASMSTART
	
             v_fmac_f32 v70, v28, v22 
             
	;;#ASMEND
	;;#ASMSTART
	
             v_fmac_f32 v71, v28, v23 
             
	;;#ASMEND
	;;#ASMSTART
	
             v_fmac_f32 v68, v28, v24 
             
	;;#ASMEND
	;;#ASMSTART
	
             v_fmac_f32 v69, v28, v25 
             
	;;#ASMEND
	;;#ASMSTART
	
             v_fmac_f32 v86, v29, v22 
             
	;;#ASMEND
	;;#ASMSTART
	
             v_fmac_f32 v87, v29, v23 
             
	;;#ASMEND
	;;#ASMSTART
	
             v_fmac_f32 v84, v29, v24 
             
	;;#ASMEND
	;;#ASMSTART
	
             v_fmac_f32 v85, v29, v25 
             
	;;#ASMEND
	ds_read_b128 v[26:29], v94 offset:512
	s_waitcnt lgkmcnt(1)
	;;#ASMSTART
	
             v_fmac_f32 v60, v34, v30 
             
	;;#ASMEND
	;;#ASMSTART
	
             v_fmac_f32 v61, v34, v31 
             
	;;#ASMEND
	;; [unrolled: 5-line block ×16, first 2 shown]
	ds_read_b128 v[30:33], v95 offset:16896
	;;#ASMSTART
	
             v_fmac_f32 v56, v34, v22 
             
	;;#ASMEND
	;;#ASMSTART
	
             v_fmac_f32 v57, v34, v23 
             
	;;#ASMEND
	;; [unrolled: 5-line block ×16, first 2 shown]
	ds_read_b128 v[22:25], v95 offset:17152
	ds_read_b128 v[34:37], v94 offset:768
	s_waitcnt lgkmcnt(2)
	;;#ASMSTART
	
             v_fmac_f32 v50, v26, v30 
             
	;;#ASMEND
	;;#ASMSTART
	
             v_fmac_f32 v51, v26, v31 
             
	;;#ASMEND
	;;#ASMSTART
	
             v_fmac_f32 v48, v26, v32 
             
	;;#ASMEND
	;;#ASMSTART
	
             v_fmac_f32 v49, v26, v33 
             
	;;#ASMEND
	;;#ASMSTART
	
             v_fmac_f32 v76, v27, v30 
             
	;;#ASMEND
	;;#ASMSTART
	
             v_fmac_f32 v77, v27, v31 
             
	;;#ASMEND
	;;#ASMSTART
	
             v_fmac_f32 v74, v27, v32 
             
	;;#ASMEND
	;;#ASMSTART
	
             v_fmac_f32 v75, v27, v33 
             
	;;#ASMEND
	;;#ASMSTART
	
             v_fmac_f32 v66, v28, v30 
             
	;;#ASMEND
	;;#ASMSTART
	
             v_fmac_f32 v67, v28, v31 
             
	;;#ASMEND
	;;#ASMSTART
	
             v_fmac_f32 v64, v28, v32 
             
	;;#ASMEND
	;;#ASMSTART
	
             v_fmac_f32 v65, v28, v33 
             
	;;#ASMEND
	;;#ASMSTART
	
             v_fmac_f32 v72, v29, v30 
             
	;;#ASMEND
	;;#ASMSTART
	
             v_fmac_f32 v73, v29, v31 
             
	;;#ASMEND
	;;#ASMSTART
	
             v_fmac_f32 v62, v29, v32 
             
	;;#ASMEND
	;;#ASMSTART
	
             v_fmac_f32 v63, v29, v33 
             
	;;#ASMEND
	s_waitcnt lgkmcnt(1)
	;;#ASMSTART
	
             v_fmac_f32 v54, v26, v22 
             
	;;#ASMEND
	;;#ASMSTART
	
             v_fmac_f32 v55, v26, v23 
             
	;;#ASMEND
	;; [unrolled: 5-line block ×16, first 2 shown]
	ds_read_b128 v[26:29], v94 offset:1024
	s_waitcnt lgkmcnt(1)
	;;#ASMSTART
	
             v_fmac_f32 v60, v34, v30 
             
	;;#ASMEND
	;;#ASMSTART
	
             v_fmac_f32 v61, v34, v31 
             
	;;#ASMEND
	;; [unrolled: 5-line block ×16, first 2 shown]
	ds_read_b128 v[30:33], v95 offset:17408
	;;#ASMSTART
	
             v_fmac_f32 v56, v34, v22 
             
	;;#ASMEND
	;;#ASMSTART
	
             v_fmac_f32 v57, v34, v23 
             
	;;#ASMEND
	;; [unrolled: 5-line block ×16, first 2 shown]
	ds_read_b128 v[22:25], v95 offset:17664
	ds_read_b128 v[34:37], v94 offset:1280
	s_waitcnt lgkmcnt(2)
	;;#ASMSTART
	
             v_fmac_f32 v50, v26, v30 
             
	;;#ASMEND
	;;#ASMSTART
	
             v_fmac_f32 v51, v26, v31 
             
	;;#ASMEND
	;; [unrolled: 5-line block ×16, first 2 shown]
	s_waitcnt lgkmcnt(1)
	;;#ASMSTART
	
             v_fmac_f32 v54, v26, v22 
             
	;;#ASMEND
	;;#ASMSTART
	
             v_fmac_f32 v55, v26, v23 
             
	;;#ASMEND
	;; [unrolled: 5-line block ×16, first 2 shown]
	ds_read_b128 v[26:29], v94 offset:1536
	s_waitcnt lgkmcnt(1)
	;;#ASMSTART
	
             v_fmac_f32 v60, v34, v30 
             
	;;#ASMEND
	;;#ASMSTART
	
             v_fmac_f32 v61, v34, v31 
             
	;;#ASMEND
	;; [unrolled: 5-line block ×16, first 2 shown]
	ds_read_b128 v[30:33], v95 offset:17920
	;;#ASMSTART
	
             v_fmac_f32 v56, v34, v22 
             
	;;#ASMEND
	;;#ASMSTART
	
             v_fmac_f32 v57, v34, v23 
             
	;;#ASMEND
	;; [unrolled: 5-line block ×16, first 2 shown]
	ds_read_b128 v[22:25], v95 offset:18176
	ds_read_b128 v[34:37], v94 offset:1792
	s_waitcnt lgkmcnt(2)
	;;#ASMSTART
	
             v_fmac_f32 v50, v26, v30 
             
	;;#ASMEND
	;;#ASMSTART
	
             v_fmac_f32 v51, v26, v31 
             
	;;#ASMEND
	;; [unrolled: 5-line block ×16, first 2 shown]
	s_waitcnt lgkmcnt(1)
	;;#ASMSTART
	
             v_fmac_f32 v54, v26, v22 
             
	;;#ASMEND
	;;#ASMSTART
	
             v_fmac_f32 v55, v26, v23 
             
	;;#ASMEND
	;;#ASMSTART
	
             v_fmac_f32 v52, v26, v24 
             
	;;#ASMEND
	;;#ASMSTART
	
             v_fmac_f32 v53, v26, v25 
             
	;;#ASMEND
	;;#ASMSTART
	
             v_fmac_f32 v82, v27, v22 
             
	;;#ASMEND
	;;#ASMSTART
	
             v_fmac_f32 v83, v27, v23 
             
	;;#ASMEND
	;;#ASMSTART
	
             v_fmac_f32 v80, v27, v24 
             
	;;#ASMEND
	;;#ASMSTART
	
             v_fmac_f32 v81, v27, v25 
             
	;;#ASMEND
	;;#ASMSTART
	
             v_fmac_f32 v70, v28, v22 
             
	;;#ASMEND
	;;#ASMSTART
	
             v_fmac_f32 v71, v28, v23 
             
	;;#ASMEND
	;;#ASMSTART
	
             v_fmac_f32 v68, v28, v24 
             
	;;#ASMEND
	;;#ASMSTART
	
             v_fmac_f32 v69, v28, v25 
             
	;;#ASMEND
	;;#ASMSTART
	
             v_fmac_f32 v86, v29, v22 
             
	;;#ASMEND
	;;#ASMSTART
	
             v_fmac_f32 v87, v29, v23 
             
	;;#ASMEND
	;;#ASMSTART
	
             v_fmac_f32 v84, v29, v24 
             
	;;#ASMEND
	;;#ASMSTART
	
             v_fmac_f32 v85, v29, v25 
             
	;;#ASMEND
	ds_read_b128 v[26:29], v94 offset:2048
	s_waitcnt lgkmcnt(1)
	;;#ASMSTART
	
             v_fmac_f32 v60, v34, v30 
             
	;;#ASMEND
	;;#ASMSTART
	
             v_fmac_f32 v61, v34, v31 
             
	;;#ASMEND
	;; [unrolled: 5-line block ×16, first 2 shown]
	ds_read_b128 v[30:33], v95 offset:18432
	;;#ASMSTART
	
             v_fmac_f32 v56, v34, v22 
             
	;;#ASMEND
	;;#ASMSTART
	
             v_fmac_f32 v57, v34, v23 
             
	;;#ASMEND
	;; [unrolled: 5-line block ×16, first 2 shown]
	ds_read_b128 v[22:25], v95 offset:18688
	ds_read_b128 v[34:37], v94 offset:2304
	s_waitcnt lgkmcnt(2)
	;;#ASMSTART
	
             v_fmac_f32 v50, v26, v30 
             
	;;#ASMEND
	;;#ASMSTART
	
             v_fmac_f32 v51, v26, v31 
             
	;;#ASMEND
	;; [unrolled: 5-line block ×16, first 2 shown]
	s_waitcnt lgkmcnt(1)
	;;#ASMSTART
	
             v_fmac_f32 v54, v26, v22 
             
	;;#ASMEND
	;;#ASMSTART
	
             v_fmac_f32 v55, v26, v23 
             
	;;#ASMEND
	;; [unrolled: 5-line block ×16, first 2 shown]
	ds_read_b128 v[26:29], v94 offset:2560
	s_waitcnt lgkmcnt(1)
	;;#ASMSTART
	
             v_fmac_f32 v60, v34, v30 
             
	;;#ASMEND
	;;#ASMSTART
	
             v_fmac_f32 v61, v34, v31 
             
	;;#ASMEND
	;; [unrolled: 5-line block ×16, first 2 shown]
	ds_read_b128 v[30:33], v95 offset:18944
	;;#ASMSTART
	
             v_fmac_f32 v56, v34, v22 
             
	;;#ASMEND
	;;#ASMSTART
	
             v_fmac_f32 v57, v34, v23 
             
	;;#ASMEND
	;; [unrolled: 5-line block ×16, first 2 shown]
	ds_read_b128 v[22:25], v95 offset:19200
	ds_read_b128 v[34:37], v94 offset:2816
	s_waitcnt lgkmcnt(2)
	;;#ASMSTART
	
             v_fmac_f32 v50, v26, v30 
             
	;;#ASMEND
	;;#ASMSTART
	
             v_fmac_f32 v51, v26, v31 
             
	;;#ASMEND
	;; [unrolled: 5-line block ×16, first 2 shown]
	s_waitcnt lgkmcnt(1)
	;;#ASMSTART
	
             v_fmac_f32 v54, v26, v22 
             
	;;#ASMEND
	;;#ASMSTART
	
             v_fmac_f32 v55, v26, v23 
             
	;;#ASMEND
	;; [unrolled: 5-line block ×16, first 2 shown]
	ds_read_b128 v[26:29], v94 offset:3072
	s_waitcnt lgkmcnt(1)
	;;#ASMSTART
	
             v_fmac_f32 v60, v34, v30 
             
	;;#ASMEND
	;;#ASMSTART
	
             v_fmac_f32 v61, v34, v31 
             
	;;#ASMEND
	;; [unrolled: 5-line block ×16, first 2 shown]
	ds_read_b128 v[30:33], v95 offset:19456
	;;#ASMSTART
	
             v_fmac_f32 v56, v34, v22 
             
	;;#ASMEND
	;;#ASMSTART
	
             v_fmac_f32 v57, v34, v23 
             
	;;#ASMEND
	;; [unrolled: 5-line block ×16, first 2 shown]
	ds_read_b128 v[22:25], v95 offset:19712
	ds_read_b128 v[34:37], v94 offset:3328
	s_waitcnt lgkmcnt(2)
	;;#ASMSTART
	
             v_fmac_f32 v50, v26, v30 
             
	;;#ASMEND
	;;#ASMSTART
	
             v_fmac_f32 v51, v26, v31 
             
	;;#ASMEND
	;; [unrolled: 5-line block ×16, first 2 shown]
	s_waitcnt lgkmcnt(1)
	;;#ASMSTART
	
             v_fmac_f32 v54, v26, v22 
             
	;;#ASMEND
	;;#ASMSTART
	
             v_fmac_f32 v55, v26, v23 
             
	;;#ASMEND
	;; [unrolled: 5-line block ×16, first 2 shown]
	ds_read_b128 v[26:29], v94 offset:3584
	s_waitcnt lgkmcnt(1)
	;;#ASMSTART
	
             v_fmac_f32 v60, v34, v30 
             
	;;#ASMEND
	;;#ASMSTART
	
             v_fmac_f32 v61, v34, v31 
             
	;;#ASMEND
	;; [unrolled: 5-line block ×16, first 2 shown]
	ds_read_b128 v[30:33], v95 offset:19968
	;;#ASMSTART
	
             v_fmac_f32 v56, v34, v22 
             
	;;#ASMEND
	;;#ASMSTART
	
             v_fmac_f32 v57, v34, v23 
             
	;;#ASMEND
	;; [unrolled: 5-line block ×16, first 2 shown]
	ds_read_b128 v[22:25], v95 offset:20224
	ds_read_b128 v[34:37], v94 offset:3840
	s_waitcnt lgkmcnt(2)
	;;#ASMSTART
	
             v_fmac_f32 v50, v26, v30 
             
	;;#ASMEND
	;;#ASMSTART
	
             v_fmac_f32 v51, v26, v31 
             
	;;#ASMEND
	;; [unrolled: 5-line block ×16, first 2 shown]
	s_waitcnt lgkmcnt(1)
	;;#ASMSTART
	
             v_fmac_f32 v54, v26, v22 
             
	;;#ASMEND
	;;#ASMSTART
	
             v_fmac_f32 v55, v26, v23 
             
	;;#ASMEND
	;; [unrolled: 5-line block ×16, first 2 shown]
	ds_read_b128 v[26:29], v94 offset:4096
	s_waitcnt lgkmcnt(1)
	;;#ASMSTART
	
             v_fmac_f32 v60, v34, v30 
             
	;;#ASMEND
	;;#ASMSTART
	
             v_fmac_f32 v61, v34, v31 
             
	;;#ASMEND
	;; [unrolled: 5-line block ×16, first 2 shown]
	ds_read_b128 v[30:33], v95 offset:20480
	;;#ASMSTART
	
             v_fmac_f32 v56, v34, v22 
             
	;;#ASMEND
	;;#ASMSTART
	
             v_fmac_f32 v57, v34, v23 
             
	;;#ASMEND
	;; [unrolled: 5-line block ×16, first 2 shown]
	ds_read_b128 v[22:25], v95 offset:20736
	ds_read_b128 v[34:37], v94 offset:4352
	s_waitcnt lgkmcnt(2)
	;;#ASMSTART
	
             v_fmac_f32 v50, v26, v30 
             
	;;#ASMEND
	;;#ASMSTART
	
             v_fmac_f32 v51, v26, v31 
             
	;;#ASMEND
	;; [unrolled: 5-line block ×16, first 2 shown]
	s_waitcnt lgkmcnt(1)
	;;#ASMSTART
	
             v_fmac_f32 v54, v26, v22 
             
	;;#ASMEND
	;;#ASMSTART
	
             v_fmac_f32 v55, v26, v23 
             
	;;#ASMEND
	;; [unrolled: 5-line block ×16, first 2 shown]
	ds_read_b128 v[26:29], v94 offset:4608
	s_waitcnt lgkmcnt(1)
	;;#ASMSTART
	
             v_fmac_f32 v60, v34, v30 
             
	;;#ASMEND
	;;#ASMSTART
	
             v_fmac_f32 v61, v34, v31 
             
	;;#ASMEND
	;; [unrolled: 5-line block ×16, first 2 shown]
	ds_read_b128 v[30:33], v95 offset:20992
	;;#ASMSTART
	
             v_fmac_f32 v56, v34, v22 
             
	;;#ASMEND
	;;#ASMSTART
	
             v_fmac_f32 v57, v34, v23 
             
	;;#ASMEND
	;; [unrolled: 5-line block ×16, first 2 shown]
	ds_read_b128 v[22:25], v95 offset:21248
	ds_read_b128 v[34:37], v94 offset:4864
	s_waitcnt lgkmcnt(2)
	;;#ASMSTART
	
             v_fmac_f32 v50, v26, v30 
             
	;;#ASMEND
	;;#ASMSTART
	
             v_fmac_f32 v51, v26, v31 
             
	;;#ASMEND
	;; [unrolled: 5-line block ×16, first 2 shown]
	s_waitcnt lgkmcnt(1)
	;;#ASMSTART
	
             v_fmac_f32 v54, v26, v22 
             
	;;#ASMEND
	;;#ASMSTART
	
             v_fmac_f32 v55, v26, v23 
             
	;;#ASMEND
	;; [unrolled: 5-line block ×16, first 2 shown]
	ds_read_b128 v[26:29], v94 offset:5120
	s_waitcnt lgkmcnt(1)
	;;#ASMSTART
	
             v_fmac_f32 v60, v34, v30 
             
	;;#ASMEND
	;;#ASMSTART
	
             v_fmac_f32 v61, v34, v31 
             
	;;#ASMEND
	;; [unrolled: 5-line block ×16, first 2 shown]
	ds_read_b128 v[30:33], v95 offset:21504
	;;#ASMSTART
	
             v_fmac_f32 v56, v34, v22 
             
	;;#ASMEND
	;;#ASMSTART
	
             v_fmac_f32 v57, v34, v23 
             
	;;#ASMEND
	;; [unrolled: 5-line block ×16, first 2 shown]
	ds_read_b128 v[22:25], v95 offset:21760
	ds_read_b128 v[34:37], v94 offset:5376
	s_waitcnt lgkmcnt(2)
	;;#ASMSTART
	
             v_fmac_f32 v50, v26, v30 
             
	;;#ASMEND
	;;#ASMSTART
	
             v_fmac_f32 v51, v26, v31 
             
	;;#ASMEND
	;; [unrolled: 5-line block ×16, first 2 shown]
	s_waitcnt lgkmcnt(1)
	;;#ASMSTART
	
             v_fmac_f32 v54, v26, v22 
             
	;;#ASMEND
	;;#ASMSTART
	
             v_fmac_f32 v55, v26, v23 
             
	;;#ASMEND
	;; [unrolled: 5-line block ×16, first 2 shown]
	ds_read_b128 v[26:29], v94 offset:5632
	s_waitcnt lgkmcnt(1)
	;;#ASMSTART
	
             v_fmac_f32 v60, v34, v30 
             
	;;#ASMEND
	;;#ASMSTART
	
             v_fmac_f32 v61, v34, v31 
             
	;;#ASMEND
	;; [unrolled: 5-line block ×16, first 2 shown]
	ds_read_b128 v[30:33], v95 offset:22016
	;;#ASMSTART
	
             v_fmac_f32 v56, v34, v22 
             
	;;#ASMEND
	;;#ASMSTART
	
             v_fmac_f32 v57, v34, v23 
             
	;;#ASMEND
	;; [unrolled: 5-line block ×16, first 2 shown]
	ds_read_b128 v[22:25], v95 offset:22272
	ds_read_b128 v[34:37], v94 offset:5888
	s_waitcnt lgkmcnt(2)
	;;#ASMSTART
	
             v_fmac_f32 v50, v26, v30 
             
	;;#ASMEND
	;;#ASMSTART
	
             v_fmac_f32 v51, v26, v31 
             
	;;#ASMEND
	;; [unrolled: 5-line block ×16, first 2 shown]
	s_waitcnt lgkmcnt(1)
	;;#ASMSTART
	
             v_fmac_f32 v54, v26, v22 
             
	;;#ASMEND
	;;#ASMSTART
	
             v_fmac_f32 v55, v26, v23 
             
	;;#ASMEND
	;; [unrolled: 5-line block ×16, first 2 shown]
	ds_read_b128 v[26:29], v94 offset:6144
	s_waitcnt lgkmcnt(1)
	;;#ASMSTART
	
             v_fmac_f32 v60, v34, v30 
             
	;;#ASMEND
	;;#ASMSTART
	
             v_fmac_f32 v61, v34, v31 
             
	;;#ASMEND
	;; [unrolled: 5-line block ×16, first 2 shown]
	ds_read_b128 v[30:33], v95 offset:22528
	;;#ASMSTART
	
             v_fmac_f32 v56, v34, v22 
             
	;;#ASMEND
	;;#ASMSTART
	
             v_fmac_f32 v57, v34, v23 
             
	;;#ASMEND
	;;#ASMSTART
	
             v_fmac_f32 v46, v34, v24 
             
	;;#ASMEND
	;;#ASMSTART
	
             v_fmac_f32 v47, v34, v25 
             
	;;#ASMEND
	;;#ASMSTART
	
             v_fmac_f32 v98, v35, v22 
             
	;;#ASMEND
	;;#ASMSTART
	
             v_fmac_f32 v99, v35, v23 
             
	;;#ASMEND
	;;#ASMSTART
	
             v_fmac_f32 v96, v35, v24 
             
	;;#ASMEND
	;;#ASMSTART
	
             v_fmac_f32 v97, v35, v25 
             
	;;#ASMEND
	;;#ASMSTART
	
             v_fmac_f32 v114, v36, v22 
             
	;;#ASMEND
	;;#ASMSTART
	
             v_fmac_f32 v115, v36, v23 
             
	;;#ASMEND
	;;#ASMSTART
	
             v_fmac_f32 v112, v36, v24 
             
	;;#ASMEND
	;;#ASMSTART
	
             v_fmac_f32 v113, v36, v25 
             
	;;#ASMEND
	;;#ASMSTART
	
             v_fmac_f32 v16, v37, v22 
             
	;;#ASMEND
	;;#ASMSTART
	
             v_fmac_f32 v17, v37, v23 
             
	;;#ASMEND
	;;#ASMSTART
	
             v_fmac_f32 v40, v37, v24 
             
	;;#ASMEND
	;;#ASMSTART
	
             v_fmac_f32 v41, v37, v25 
             
	;;#ASMEND
	ds_read_b128 v[22:25], v95 offset:22784
	ds_read_b128 v[34:37], v94 offset:6400
	s_waitcnt lgkmcnt(2)
	;;#ASMSTART
	
             v_fmac_f32 v50, v26, v30 
             
	;;#ASMEND
	;;#ASMSTART
	
             v_fmac_f32 v51, v26, v31 
             
	;;#ASMEND
	;; [unrolled: 5-line block ×16, first 2 shown]
	s_waitcnt lgkmcnt(1)
	;;#ASMSTART
	
             v_fmac_f32 v54, v26, v22 
             
	;;#ASMEND
	;;#ASMSTART
	
             v_fmac_f32 v55, v26, v23 
             
	;;#ASMEND
	;;#ASMSTART
	
             v_fmac_f32 v52, v26, v24 
             
	;;#ASMEND
	;;#ASMSTART
	
             v_fmac_f32 v53, v26, v25 
             
	;;#ASMEND
	;;#ASMSTART
	
             v_fmac_f32 v82, v27, v22 
             
	;;#ASMEND
	;;#ASMSTART
	
             v_fmac_f32 v83, v27, v23 
             
	;;#ASMEND
	;;#ASMSTART
	
             v_fmac_f32 v80, v27, v24 
             
	;;#ASMEND
	;;#ASMSTART
	
             v_fmac_f32 v81, v27, v25 
             
	;;#ASMEND
	;;#ASMSTART
	
             v_fmac_f32 v70, v28, v22 
             
	;;#ASMEND
	;;#ASMSTART
	
             v_fmac_f32 v71, v28, v23 
             
	;;#ASMEND
	;;#ASMSTART
	
             v_fmac_f32 v68, v28, v24 
             
	;;#ASMEND
	;;#ASMSTART
	
             v_fmac_f32 v69, v28, v25 
             
	;;#ASMEND
	;;#ASMSTART
	
             v_fmac_f32 v86, v29, v22 
             
	;;#ASMEND
	;;#ASMSTART
	
             v_fmac_f32 v87, v29, v23 
             
	;;#ASMEND
	;;#ASMSTART
	
             v_fmac_f32 v84, v29, v24 
             
	;;#ASMEND
	;;#ASMSTART
	
             v_fmac_f32 v85, v29, v25 
             
	;;#ASMEND
	ds_read_b128 v[26:29], v94 offset:6656
	s_waitcnt lgkmcnt(1)
	;;#ASMSTART
	
             v_fmac_f32 v60, v34, v30 
             
	;;#ASMEND
	;;#ASMSTART
	
             v_fmac_f32 v61, v34, v31 
             
	;;#ASMEND
	;; [unrolled: 5-line block ×16, first 2 shown]
	ds_read_b128 v[30:33], v95 offset:23040
	;;#ASMSTART
	
             v_fmac_f32 v56, v34, v22 
             
	;;#ASMEND
	;;#ASMSTART
	
             v_fmac_f32 v57, v34, v23 
             
	;;#ASMEND
	;; [unrolled: 5-line block ×16, first 2 shown]
	ds_read_b128 v[22:25], v95 offset:23296
	ds_read_b128 v[34:37], v94 offset:6912
	s_waitcnt lgkmcnt(2)
	;;#ASMSTART
	
             v_fmac_f32 v50, v26, v30 
             
	;;#ASMEND
	;;#ASMSTART
	
             v_fmac_f32 v51, v26, v31 
             
	;;#ASMEND
	;; [unrolled: 5-line block ×16, first 2 shown]
	s_waitcnt lgkmcnt(1)
	;;#ASMSTART
	
             v_fmac_f32 v54, v26, v22 
             
	;;#ASMEND
	;;#ASMSTART
	
             v_fmac_f32 v55, v26, v23 
             
	;;#ASMEND
	;; [unrolled: 5-line block ×16, first 2 shown]
	ds_read_b128 v[26:29], v94 offset:7168
	s_waitcnt lgkmcnt(1)
	;;#ASMSTART
	
             v_fmac_f32 v60, v34, v30 
             
	;;#ASMEND
	;;#ASMSTART
	
             v_fmac_f32 v61, v34, v31 
             
	;;#ASMEND
	;; [unrolled: 5-line block ×16, first 2 shown]
	ds_read_b128 v[30:33], v95 offset:23552
	;;#ASMSTART
	
             v_fmac_f32 v56, v34, v22 
             
	;;#ASMEND
	;;#ASMSTART
	
             v_fmac_f32 v57, v34, v23 
             
	;;#ASMEND
	;; [unrolled: 5-line block ×16, first 2 shown]
	ds_read_b128 v[22:25], v95 offset:23808
	ds_read_b128 v[34:37], v94 offset:7424
	s_waitcnt lgkmcnt(2)
	;;#ASMSTART
	
             v_fmac_f32 v50, v26, v30 
             
	;;#ASMEND
	;;#ASMSTART
	
             v_fmac_f32 v51, v26, v31 
             
	;;#ASMEND
	;; [unrolled: 5-line block ×16, first 2 shown]
	s_waitcnt lgkmcnt(1)
	;;#ASMSTART
	
             v_fmac_f32 v54, v26, v22 
             
	;;#ASMEND
	;;#ASMSTART
	
             v_fmac_f32 v55, v26, v23 
             
	;;#ASMEND
	;; [unrolled: 5-line block ×16, first 2 shown]
	ds_read_b128 v[26:29], v94 offset:7680
	s_waitcnt lgkmcnt(1)
	;;#ASMSTART
	
             v_fmac_f32 v60, v34, v30 
             
	;;#ASMEND
	;;#ASMSTART
	
             v_fmac_f32 v61, v34, v31 
             
	;;#ASMEND
	;; [unrolled: 5-line block ×16, first 2 shown]
	ds_read_b128 v[30:33], v95 offset:24064
	;;#ASMSTART
	
             v_fmac_f32 v56, v34, v22 
             
	;;#ASMEND
	;;#ASMSTART
	
             v_fmac_f32 v57, v34, v23 
             
	;;#ASMEND
	;; [unrolled: 5-line block ×16, first 2 shown]
	ds_read_b128 v[22:25], v95 offset:24320
	ds_read_b128 v[34:37], v94 offset:7936
	s_waitcnt lgkmcnt(2)
	;;#ASMSTART
	
             v_fmac_f32 v50, v26, v30 
             
	;;#ASMEND
	;;#ASMSTART
	
             v_fmac_f32 v51, v26, v31 
             
	;;#ASMEND
	;; [unrolled: 5-line block ×16, first 2 shown]
	s_waitcnt lgkmcnt(1)
	;;#ASMSTART
	
             v_fmac_f32 v54, v26, v22 
             
	;;#ASMEND
	;;#ASMSTART
	
             v_fmac_f32 v55, v26, v23 
             
	;;#ASMEND
	;; [unrolled: 5-line block ×16, first 2 shown]
	s_waitcnt lgkmcnt(0)
	;;#ASMSTART
	
             v_fmac_f32 v60, v34, v30 
             
	;;#ASMEND
	;;#ASMSTART
	
             v_fmac_f32 v61, v34, v31 
             
	;;#ASMEND
	;;#ASMSTART
	
             v_fmac_f32 v58, v34, v32 
             
	;;#ASMEND
	;;#ASMSTART
	
             v_fmac_f32 v59, v34, v33 
             
	;;#ASMEND
	;;#ASMSTART
	
             v_fmac_f32 v44, v35, v30 
             
	;;#ASMEND
	;;#ASMSTART
	
             v_fmac_f32 v45, v35, v31 
             
	;;#ASMEND
	;;#ASMSTART
	
             v_fmac_f32 v42, v35, v32 
             
	;;#ASMEND
	;;#ASMSTART
	
             v_fmac_f32 v43, v35, v33 
             
	;;#ASMEND
	;;#ASMSTART
	
             v_fmac_f32 v102, v36, v30 
             
	;;#ASMEND
	;;#ASMSTART
	
             v_fmac_f32 v103, v36, v31 
             
	;;#ASMEND
	;;#ASMSTART
	
             v_fmac_f32 v100, v36, v32 
             
	;;#ASMEND
	;;#ASMSTART
	
             v_fmac_f32 v101, v36, v33 
             
	;;#ASMEND
	;;#ASMSTART
	
             v_fmac_f32 v118, v37, v30 
             
	;;#ASMEND
	;;#ASMSTART
	
             v_fmac_f32 v119, v37, v31 
             
	;;#ASMEND
	;;#ASMSTART
	
             v_fmac_f32 v116, v37, v32 
             
	;;#ASMEND
	;;#ASMSTART
	
             v_fmac_f32 v117, v37, v33 
             
	;;#ASMEND
	;;#ASMSTART
	
             v_fmac_f32 v56, v34, v22 
             
	;;#ASMEND
	;;#ASMSTART
	
             v_fmac_f32 v57, v34, v23 
             
	;;#ASMEND
	;;#ASMSTART
	
             v_fmac_f32 v46, v34, v24 
             
	;;#ASMEND
	;;#ASMSTART
	
             v_fmac_f32 v47, v34, v25 
             
	;;#ASMEND
	;;#ASMSTART
	
             v_fmac_f32 v98, v35, v22 
             
	;;#ASMEND
	;;#ASMSTART
	
             v_fmac_f32 v99, v35, v23 
             
	;;#ASMEND
	;;#ASMSTART
	
             v_fmac_f32 v96, v35, v24 
             
	;;#ASMEND
	;;#ASMSTART
	
             v_fmac_f32 v97, v35, v25 
             
	;;#ASMEND
	;;#ASMSTART
	
             v_fmac_f32 v114, v36, v22 
             
	;;#ASMEND
	;;#ASMSTART
	
             v_fmac_f32 v115, v36, v23 
             
	;;#ASMEND
	;;#ASMSTART
	
             v_fmac_f32 v112, v36, v24 
             
	;;#ASMEND
	;;#ASMSTART
	
             v_fmac_f32 v113, v36, v25 
             
	;;#ASMEND
	;;#ASMSTART
	
             v_fmac_f32 v16, v37, v22 
             
	;;#ASMEND
	;;#ASMSTART
	
             v_fmac_f32 v17, v37, v23 
             
	;;#ASMEND
	;;#ASMSTART
	
             v_fmac_f32 v40, v37, v24 
             
	;;#ASMEND
	;;#ASMSTART
	
             v_fmac_f32 v41, v37, v25 
             
	;;#ASMEND
	flat_load_dword v24, v[8:9] offset:216
	flat_load_dwordx2 v[32:33], v[8:9] offset:172
	flat_load_dwordx2 v[30:31], v[8:9] offset:160
	v_cndmask_b32_e32 v20, 0, v20, vcc
	v_accvgpr_read_b32 v22, a11
	v_cndmask_b32_e32 v21, 0, v21, vcc
	ds_write2st64_b32 v22, v15, v105 offset0:2 offset1:4
	ds_write2st64_b32 v22, v12, v20 offset0:6 offset1:8
	;; [unrolled: 1-line block ×3, first 2 shown]
	ds_write_b32 v22, v14 offset:3584
	flat_load_dwordx2 v[34:35], v[8:9] offset:148
	v_accvgpr_read_b32 v14, a12
	ds_write2st64_b32 v106, v13, v124 offset0:32 offset1:96
	ds_write2st64_b32 v14, v123, v122 offset0:2 offset1:4
	ds_write2st64_b32 v14, v121, v91 offset0:6 offset1:8
	flat_load_dword v12, v[8:9] offset:92
	flat_load_dword v13, v[8:9] offset:76
	ds_write2st64_b32 v14, v127, v126 offset0:10 offset1:12
	flat_load_dword v15, v[10:11] offset:48
	ds_write_b32 v14, v125 offset:3584
	flat_load_dword v91, v[8:9] offset:200
	flat_load_dword v25, v[8:9] offset:188
	flat_load_dwordx4 v[20:23], v[8:9] offset:36
	flat_load_dwordx2 v[36:37], v[8:9] offset:52
	flat_load_dwordx3 v[26:28], v[8:9] offset:20
	s_waitcnt vmcnt(0) lgkmcnt(0)
	v_mul_lo_u32 v14, v24, 12
	v_add_u32_e32 v105, v14, v39
	v_add_u32_e32 v14, v14, v111
	v_mul_hi_u32 v29, v14, v31
	v_add_u32_e32 v29, v14, v29
	v_lshrrev_b32_e32 v111, v33, v29
	v_mul_hi_u32 v29, v111, v30
	v_add_u32_e32 v29, v111, v29
	v_lshrrev_b32_e32 v104, v32, v29
	v_mul_lo_u32 v29, v104, v34
	v_sub_u32_e32 v109, v111, v29
	v_sub_u32_e32 v29, v104, v93
	v_sub_u32_e32 v4, v109, v4
	v_mul_lo_u32 v121, v4, v12
	v_mul_lo_u32 v122, v29, v13
	;; [unrolled: 1-line block ×3, first 2 shown]
	v_sub_u32_e32 v108, v23, v37
	v_sub_u32_e32 v37, v20, v22
	v_mul_lo_u32 v20, v111, v35
	v_add_u32_e32 v110, v122, v107
	v_add_u32_e32 v39, v4, v120
	v_sub_u32_e32 v120, v14, v20
	v_cmp_le_i32_e64 s[6:7], v21, v110
	v_cmp_gt_i32_e64 s[8:9], v37, v110
	v_sub_u32_e32 v5, v120, v5
	v_add_u32_e32 v29, v4, v92
	s_and_b64 s[10:11], s[6:7], s[8:9]
	v_add_u32_e32 v92, v121, v90
	v_mad_u64_u32 v[22:23], s[6:7], v28, v5, v[38:39]
	v_cmp_le_i32_e64 s[6:7], v36, v92
	v_cmp_gt_i32_e64 s[8:9], v108, v92
	v_cmp_lt_i32_e64 s[4:5], v105, v91
	v_accvgpr_read_b32 v4, a7
	s_and_b64 s[6:7], s[6:7], s[8:9]
	v_cmp_lt_i32_e32 vcc, v4, v25
	v_lshlrev_b32_e32 v4, 2, v24
	v_mul_lo_u32 v20, v122, v26
	v_mul_lo_u32 v24, v121, v27
	s_and_b64 s[4:5], s[4:5], s[6:7]
	v_add3_u32 v20, v22, v20, v24
	s_and_b64 s[4:5], s[4:5], s[10:11]
	v_add_u32_e32 v93, v4, v105
	s_and_b64 s[4:5], vcc, s[4:5]
	v_lshlrev_b32_e32 v5, 2, v20
	s_mov_b64 s[10:11], exec
.LBB9_18:                               ;   Parent Loop BB9_9 Depth=1
                                        ; =>  This Inner Loop Header: Depth=2
	v_readfirstlane_b32 s12, v0
	v_readfirstlane_b32 s13, v1
	;; [unrolled: 1-line block ×4, first 2 shown]
	v_cmp_eq_u64_e64 s[6:7], s[12:13], v[0:1]
	v_cmp_eq_u64_e64 s[8:9], s[14:15], v[78:79]
	s_and_b64 s[6:7], s[6:7], s[8:9]
	s_and_saveexec_b64 s[6:7], s[6:7]
	s_nop 0
	buffer_load_dwordx4 v[22:25], v5, s[12:15], 0 offen
                                        ; implicit-def: $vgpr5
	s_xor_b64 exec, exec, s[6:7]
	s_cbranch_execnz .LBB9_18
; %bb.19:                               ;   in Loop: Header=BB9_9 Depth=1
	s_mov_b64 exec, s[10:11]
	v_add_u32_e32 v14, v4, v14
	v_mul_hi_u32 v4, v14, v31
	s_waitcnt vmcnt(0)
	v_cndmask_b32_e64 v5, 0, v25, s[4:5]
	v_add_u32_e32 v4, v14, v4
	v_accvgpr_write_b32 a13, v5
	v_lshrrev_b32_e32 v5, v33, v4
	v_mul_hi_u32 v4, v5, v30
	v_add_u32_e32 v4, v5, v4
	v_lshrrev_b32_e32 v4, v32, v4
	v_cndmask_b32_e64 v111, 0, v22, s[4:5]
	v_mul_lo_u32 v22, v4, v34
	v_cndmask_b32_e64 v107, 0, v23, s[4:5]
	v_mul_lo_u32 v23, v5, v35
	v_sub_u32_e32 v90, v5, v22
	v_sub_u32_e32 v5, v14, v23
	;; [unrolled: 1-line block ×3, first 2 shown]
	v_mul_lo_u32 v23, v23, v12
	v_cndmask_b32_e64 v105, 0, v24, s[4:5]
	v_sub_u32_e32 v22, v5, v120
	v_sub_u32_e32 v24, v4, v104
	v_add_u32_e32 v12, v23, v92
	v_mul_lo_u32 v24, v24, v13
	v_mul_lo_u32 v25, v23, v27
	v_mad_u64_u32 v[22:23], s[4:5], v28, v22, v[20:21]
	v_cmp_le_i32_e64 s[6:7], v36, v12
	v_cmp_gt_i32_e64 s[8:9], v108, v12
	v_add_u32_e32 v13, v24, v110
	v_cmp_lt_i32_e64 s[4:5], v93, v91
	s_and_b64 s[6:7], s[6:7], s[8:9]
	s_and_b64 s[8:9], s[4:5], s[6:7]
	v_cmp_le_i32_e64 s[4:5], v21, v13
	v_cmp_gt_i32_e64 s[6:7], v37, v13
	v_mul_lo_u32 v24, v24, v26
	s_and_b64 s[4:5], s[4:5], s[6:7]
	v_add3_u32 v92, v22, v24, v25
	s_and_b64 s[4:5], s[4:5], s[8:9]
	v_lshlrev_b32_e32 v24, 2, v92
	s_and_b64 vcc, vcc, s[4:5]
	s_mov_b64 s[12:13], exec
.LBB9_20:                               ;   Parent Loop BB9_9 Depth=1
                                        ; =>  This Inner Loop Header: Depth=2
	v_readfirstlane_b32 s8, v0
	v_readfirstlane_b32 s9, v1
	v_readfirstlane_b32 s10, v78
	v_readfirstlane_b32 s11, v79
	v_cmp_eq_u64_e64 s[4:5], s[8:9], v[0:1]
	v_cmp_eq_u64_e64 s[6:7], s[10:11], v[78:79]
	s_and_b64 s[4:5], s[4:5], s[6:7]
	s_and_saveexec_b64 s[4:5], s[4:5]
	s_nop 0
	buffer_load_dwordx4 v[20:23], v24, s[8:11], 0 offen
                                        ; implicit-def: $vgpr24
	s_xor_b64 exec, exec, s[4:5]
	s_cbranch_execnz .LBB9_20
; %bb.21:                               ;   in Loop: Header=BB9_9 Depth=1
	s_mov_b64 exec, s[12:13]
	flat_load_dword v24, v[10:11] offset:32
	flat_load_dword v26, v[10:11] offset:20
	s_waitcnt vmcnt(0)
	v_cndmask_b32_e32 v123, 0, v20, vcc
	v_accvgpr_read_b32 v20, a8
	v_cndmask_b32_e32 v120, 0, v23, vcc
	v_cndmask_b32_e32 v121, 0, v22, vcc
	;; [unrolled: 1-line block ×3, first 2 shown]
	v_lshlrev_b32_e32 v25, 2, v39
	s_mov_b64 s[10:11], exec
	s_waitcnt lgkmcnt(0)
	v_cmp_gt_i32_e64 s[4:5], v24, v29
	v_cmp_gt_i32_e32 vcc, v26, v20
	s_and_b64 s[4:5], vcc, s[4:5]
.LBB9_22:                               ;   Parent Loop BB9_9 Depth=1
                                        ; =>  This Inner Loop Header: Depth=2
	v_readfirstlane_b32 s12, v2
	v_readfirstlane_b32 s13, v3
	;; [unrolled: 1-line block ×4, first 2 shown]
	v_cmp_eq_u64_e64 s[6:7], s[12:13], v[2:3]
	v_cmp_eq_u64_e64 s[8:9], s[14:15], v[88:89]
	s_and_b64 s[6:7], s[6:7], s[8:9]
	s_and_saveexec_b64 s[6:7], s[6:7]
	s_nop 0
	buffer_load_dwordx4 v[20:23], v25, s[12:15], 0 offen
                                        ; implicit-def: $vgpr25
	s_xor_b64 exec, exec, s[6:7]
	s_cbranch_execnz .LBB9_22
; %bb.23:                               ;   in Loop: Header=BB9_9 Depth=1
	s_mov_b64 exec, s[10:11]
	s_waitcnt vmcnt(0)
	v_cndmask_b32_e64 v127, 0, v20, s[4:5]
	v_lshlrev_b32_e32 v20, 2, v15
	v_add_u32_e32 v15, v20, v29
	v_cndmask_b32_e64 v124, 0, v23, s[4:5]
	v_cndmask_b32_e64 v125, 0, v22, s[4:5]
	;; [unrolled: 1-line block ×3, first 2 shown]
	v_add_u32_e32 v91, v20, v39
	v_cmp_gt_i32_e64 s[4:5], v24, v15
	v_lshlrev_b32_e32 v25, 2, v91
	s_and_b64 vcc, vcc, s[4:5]
	s_mov_b64 s[12:13], exec
.LBB9_24:                               ;   Parent Loop BB9_9 Depth=1
                                        ; =>  This Inner Loop Header: Depth=2
	v_readfirstlane_b32 s8, v2
	v_readfirstlane_b32 s9, v3
	;; [unrolled: 1-line block ×4, first 2 shown]
	v_cmp_eq_u64_e64 s[4:5], s[8:9], v[2:3]
	v_cmp_eq_u64_e64 s[6:7], s[10:11], v[88:89]
	s_and_b64 s[4:5], s[4:5], s[6:7]
	s_and_saveexec_b64 s[4:5], s[4:5]
	s_nop 0
	buffer_load_dwordx4 v[20:23], v25, s[8:11], 0 offen
                                        ; implicit-def: $vgpr25
	s_xor_b64 exec, exec, s[4:5]
	s_cbranch_execnz .LBB9_24
; %bb.25:                               ;   in Loop: Header=BB9_9 Depth=1
	s_mov_b64 exec, s[12:13]
	s_waitcnt vmcnt(0)
	v_cndmask_b32_e32 v108, 0, v23, vcc
	v_cndmask_b32_e32 v109, 0, v22, vcc
	s_waitcnt lgkmcnt(0)
	s_barrier
	ds_read_b128 v[24:27], v94 offset:8192
	ds_read_b128 v[28:31], v95 offset:24576
	v_cndmask_b32_e32 v110, 0, v21, vcc
	v_cndmask_b32_e32 v104, 0, v20, vcc
	ds_read_b128 v[20:23], v95 offset:24832
	ds_read_b128 v[32:35], v94 offset:8448
	s_waitcnt lgkmcnt(2)
	;;#ASMSTART
	
             v_fmac_f32 v50, v24, v28 
             
	;;#ASMEND
	;;#ASMSTART
	
             v_fmac_f32 v51, v24, v29 
             
	;;#ASMEND
	;; [unrolled: 5-line block ×16, first 2 shown]
	s_waitcnt lgkmcnt(1)
	;;#ASMSTART
	
             v_fmac_f32 v54, v24, v20 
             
	;;#ASMEND
	;;#ASMSTART
	
             v_fmac_f32 v55, v24, v21 
             
	;;#ASMEND
	;;#ASMSTART
	
             v_fmac_f32 v52, v24, v22 
             
	;;#ASMEND
	;;#ASMSTART
	
             v_fmac_f32 v53, v24, v23 
             
	;;#ASMEND
	;;#ASMSTART
	
             v_fmac_f32 v82, v25, v20 
             
	;;#ASMEND
	;;#ASMSTART
	
             v_fmac_f32 v83, v25, v21 
             
	;;#ASMEND
	;;#ASMSTART
	
             v_fmac_f32 v80, v25, v22 
             
	;;#ASMEND
	;;#ASMSTART
	
             v_fmac_f32 v81, v25, v23 
             
	;;#ASMEND
	;;#ASMSTART
	
             v_fmac_f32 v70, v26, v20 
             
	;;#ASMEND
	;;#ASMSTART
	
             v_fmac_f32 v71, v26, v21 
             
	;;#ASMEND
	;;#ASMSTART
	
             v_fmac_f32 v68, v26, v22 
             
	;;#ASMEND
	;;#ASMSTART
	
             v_fmac_f32 v69, v26, v23 
             
	;;#ASMEND
	;;#ASMSTART
	
             v_fmac_f32 v86, v27, v20 
             
	;;#ASMEND
	;;#ASMSTART
	
             v_fmac_f32 v87, v27, v21 
             
	;;#ASMEND
	;;#ASMSTART
	
             v_fmac_f32 v84, v27, v22 
             
	;;#ASMEND
	;;#ASMSTART
	
             v_fmac_f32 v85, v27, v23 
             
	;;#ASMEND
	ds_read_b128 v[24:27], v94 offset:8704
	s_waitcnt lgkmcnt(1)
	;;#ASMSTART
	
             v_fmac_f32 v60, v32, v28 
             
	;;#ASMEND
	;;#ASMSTART
	
             v_fmac_f32 v61, v32, v29 
             
	;;#ASMEND
	;;#ASMSTART
	
             v_fmac_f32 v58, v32, v30 
             
	;;#ASMEND
	;;#ASMSTART
	
             v_fmac_f32 v59, v32, v31 
             
	;;#ASMEND
	;;#ASMSTART
	
             v_fmac_f32 v44, v33, v28 
             
	;;#ASMEND
	;;#ASMSTART
	
             v_fmac_f32 v45, v33, v29 
             
	;;#ASMEND
	;;#ASMSTART
	
             v_fmac_f32 v42, v33, v30 
             
	;;#ASMEND
	;;#ASMSTART
	
             v_fmac_f32 v43, v33, v31 
             
	;;#ASMEND
	;;#ASMSTART
	
             v_fmac_f32 v102, v34, v28 
             
	;;#ASMEND
	;;#ASMSTART
	
             v_fmac_f32 v103, v34, v29 
             
	;;#ASMEND
	;;#ASMSTART
	
             v_fmac_f32 v100, v34, v30 
             
	;;#ASMEND
	;;#ASMSTART
	
             v_fmac_f32 v101, v34, v31 
             
	;;#ASMEND
	;;#ASMSTART
	
             v_fmac_f32 v118, v35, v28 
             
	;;#ASMEND
	;;#ASMSTART
	
             v_fmac_f32 v119, v35, v29 
             
	;;#ASMEND
	;;#ASMSTART
	
             v_fmac_f32 v116, v35, v30 
             
	;;#ASMEND
	;;#ASMSTART
	
             v_fmac_f32 v117, v35, v31 
             
	;;#ASMEND
	ds_read_b128 v[28:31], v95 offset:25088
	;;#ASMSTART
	
             v_fmac_f32 v56, v32, v20 
             
	;;#ASMEND
	;;#ASMSTART
	
             v_fmac_f32 v57, v32, v21 
             
	;;#ASMEND
	;; [unrolled: 5-line block ×16, first 2 shown]
	ds_read_b128 v[20:23], v95 offset:25344
	ds_read_b128 v[32:35], v94 offset:8960
	s_waitcnt lgkmcnt(2)
	;;#ASMSTART
	
             v_fmac_f32 v50, v24, v28 
             
	;;#ASMEND
	;;#ASMSTART
	
             v_fmac_f32 v51, v24, v29 
             
	;;#ASMEND
	;; [unrolled: 5-line block ×16, first 2 shown]
	s_waitcnt lgkmcnt(1)
	;;#ASMSTART
	
             v_fmac_f32 v54, v24, v20 
             
	;;#ASMEND
	;;#ASMSTART
	
             v_fmac_f32 v55, v24, v21 
             
	;;#ASMEND
	;; [unrolled: 5-line block ×16, first 2 shown]
	ds_read_b128 v[24:27], v94 offset:9216
	s_waitcnt lgkmcnt(1)
	;;#ASMSTART
	
             v_fmac_f32 v60, v32, v28 
             
	;;#ASMEND
	;;#ASMSTART
	
             v_fmac_f32 v61, v32, v29 
             
	;;#ASMEND
	;; [unrolled: 5-line block ×16, first 2 shown]
	ds_read_b128 v[28:31], v95 offset:25600
	;;#ASMSTART
	
             v_fmac_f32 v56, v32, v20 
             
	;;#ASMEND
	;;#ASMSTART
	
             v_fmac_f32 v57, v32, v21 
             
	;;#ASMEND
	;; [unrolled: 5-line block ×16, first 2 shown]
	ds_read_b128 v[20:23], v95 offset:25856
	ds_read_b128 v[32:35], v94 offset:9472
	s_waitcnt lgkmcnt(2)
	;;#ASMSTART
	
             v_fmac_f32 v50, v24, v28 
             
	;;#ASMEND
	;;#ASMSTART
	
             v_fmac_f32 v51, v24, v29 
             
	;;#ASMEND
	;; [unrolled: 5-line block ×16, first 2 shown]
	s_waitcnt lgkmcnt(1)
	;;#ASMSTART
	
             v_fmac_f32 v54, v24, v20 
             
	;;#ASMEND
	;;#ASMSTART
	
             v_fmac_f32 v55, v24, v21 
             
	;;#ASMEND
	;; [unrolled: 5-line block ×16, first 2 shown]
	ds_read_b128 v[24:27], v94 offset:9728
	s_waitcnt lgkmcnt(1)
	;;#ASMSTART
	
             v_fmac_f32 v60, v32, v28 
             
	;;#ASMEND
	;;#ASMSTART
	
             v_fmac_f32 v61, v32, v29 
             
	;;#ASMEND
	;; [unrolled: 5-line block ×16, first 2 shown]
	ds_read_b128 v[28:31], v95 offset:26112
	;;#ASMSTART
	
             v_fmac_f32 v56, v32, v20 
             
	;;#ASMEND
	;;#ASMSTART
	
             v_fmac_f32 v57, v32, v21 
             
	;;#ASMEND
	;;#ASMSTART
	
             v_fmac_f32 v46, v32, v22 
             
	;;#ASMEND
	;;#ASMSTART
	
             v_fmac_f32 v47, v32, v23 
             
	;;#ASMEND
	;;#ASMSTART
	
             v_fmac_f32 v98, v33, v20 
             
	;;#ASMEND
	;;#ASMSTART
	
             v_fmac_f32 v99, v33, v21 
             
	;;#ASMEND
	;;#ASMSTART
	
             v_fmac_f32 v96, v33, v22 
             
	;;#ASMEND
	;;#ASMSTART
	
             v_fmac_f32 v97, v33, v23 
             
	;;#ASMEND
	;;#ASMSTART
	
             v_fmac_f32 v114, v34, v20 
             
	;;#ASMEND
	;;#ASMSTART
	
             v_fmac_f32 v115, v34, v21 
             
	;;#ASMEND
	;;#ASMSTART
	
             v_fmac_f32 v112, v34, v22 
             
	;;#ASMEND
	;;#ASMSTART
	
             v_fmac_f32 v113, v34, v23 
             
	;;#ASMEND
	;;#ASMSTART
	
             v_fmac_f32 v16, v35, v20 
             
	;;#ASMEND
	;;#ASMSTART
	
             v_fmac_f32 v17, v35, v21 
             
	;;#ASMEND
	;;#ASMSTART
	
             v_fmac_f32 v40, v35, v22 
             
	;;#ASMEND
	;;#ASMSTART
	
             v_fmac_f32 v41, v35, v23 
             
	;;#ASMEND
	ds_read_b128 v[20:23], v95 offset:26368
	ds_read_b128 v[32:35], v94 offset:9984
	s_waitcnt lgkmcnt(2)
	;;#ASMSTART
	
             v_fmac_f32 v50, v24, v28 
             
	;;#ASMEND
	;;#ASMSTART
	
             v_fmac_f32 v51, v24, v29 
             
	;;#ASMEND
	;; [unrolled: 5-line block ×16, first 2 shown]
	s_waitcnt lgkmcnt(1)
	;;#ASMSTART
	
             v_fmac_f32 v54, v24, v20 
             
	;;#ASMEND
	;;#ASMSTART
	
             v_fmac_f32 v55, v24, v21 
             
	;;#ASMEND
	;; [unrolled: 5-line block ×16, first 2 shown]
	ds_read_b128 v[24:27], v94 offset:10240
	s_waitcnt lgkmcnt(1)
	;;#ASMSTART
	
             v_fmac_f32 v60, v32, v28 
             
	;;#ASMEND
	;;#ASMSTART
	
             v_fmac_f32 v61, v32, v29 
             
	;;#ASMEND
	;; [unrolled: 5-line block ×16, first 2 shown]
	ds_read_b128 v[28:31], v95 offset:26624
	;;#ASMSTART
	
             v_fmac_f32 v56, v32, v20 
             
	;;#ASMEND
	;;#ASMSTART
	
             v_fmac_f32 v57, v32, v21 
             
	;;#ASMEND
	;; [unrolled: 5-line block ×16, first 2 shown]
	ds_read_b128 v[20:23], v95 offset:26880
	ds_read_b128 v[32:35], v94 offset:10496
	s_waitcnt lgkmcnt(2)
	;;#ASMSTART
	
             v_fmac_f32 v50, v24, v28 
             
	;;#ASMEND
	;;#ASMSTART
	
             v_fmac_f32 v51, v24, v29 
             
	;;#ASMEND
	;; [unrolled: 5-line block ×16, first 2 shown]
	s_waitcnt lgkmcnt(1)
	;;#ASMSTART
	
             v_fmac_f32 v54, v24, v20 
             
	;;#ASMEND
	;;#ASMSTART
	
             v_fmac_f32 v55, v24, v21 
             
	;;#ASMEND
	;; [unrolled: 5-line block ×16, first 2 shown]
	ds_read_b128 v[24:27], v94 offset:10752
	s_waitcnt lgkmcnt(1)
	;;#ASMSTART
	
             v_fmac_f32 v60, v32, v28 
             
	;;#ASMEND
	;;#ASMSTART
	
             v_fmac_f32 v61, v32, v29 
             
	;;#ASMEND
	;; [unrolled: 5-line block ×16, first 2 shown]
	ds_read_b128 v[28:31], v95 offset:27136
	;;#ASMSTART
	
             v_fmac_f32 v56, v32, v20 
             
	;;#ASMEND
	;;#ASMSTART
	
             v_fmac_f32 v57, v32, v21 
             
	;;#ASMEND
	;; [unrolled: 5-line block ×16, first 2 shown]
	ds_read_b128 v[20:23], v95 offset:27392
	ds_read_b128 v[32:35], v94 offset:11008
	s_waitcnt lgkmcnt(2)
	;;#ASMSTART
	
             v_fmac_f32 v50, v24, v28 
             
	;;#ASMEND
	;;#ASMSTART
	
             v_fmac_f32 v51, v24, v29 
             
	;;#ASMEND
	;; [unrolled: 5-line block ×16, first 2 shown]
	s_waitcnt lgkmcnt(1)
	;;#ASMSTART
	
             v_fmac_f32 v54, v24, v20 
             
	;;#ASMEND
	;;#ASMSTART
	
             v_fmac_f32 v55, v24, v21 
             
	;;#ASMEND
	;; [unrolled: 5-line block ×16, first 2 shown]
	ds_read_b128 v[24:27], v94 offset:11264
	s_waitcnt lgkmcnt(1)
	;;#ASMSTART
	
             v_fmac_f32 v60, v32, v28 
             
	;;#ASMEND
	;;#ASMSTART
	
             v_fmac_f32 v61, v32, v29 
             
	;;#ASMEND
	;; [unrolled: 5-line block ×16, first 2 shown]
	ds_read_b128 v[28:31], v95 offset:27648
	;;#ASMSTART
	
             v_fmac_f32 v56, v32, v20 
             
	;;#ASMEND
	;;#ASMSTART
	
             v_fmac_f32 v57, v32, v21 
             
	;;#ASMEND
	;; [unrolled: 5-line block ×16, first 2 shown]
	ds_read_b128 v[20:23], v95 offset:27904
	ds_read_b128 v[32:35], v94 offset:11520
	s_waitcnt lgkmcnt(2)
	;;#ASMSTART
	
             v_fmac_f32 v50, v24, v28 
             
	;;#ASMEND
	;;#ASMSTART
	
             v_fmac_f32 v51, v24, v29 
             
	;;#ASMEND
	;; [unrolled: 5-line block ×16, first 2 shown]
	s_waitcnt lgkmcnt(1)
	;;#ASMSTART
	
             v_fmac_f32 v54, v24, v20 
             
	;;#ASMEND
	;;#ASMSTART
	
             v_fmac_f32 v55, v24, v21 
             
	;;#ASMEND
	;; [unrolled: 5-line block ×16, first 2 shown]
	ds_read_b128 v[24:27], v94 offset:11776
	s_waitcnt lgkmcnt(1)
	;;#ASMSTART
	
             v_fmac_f32 v60, v32, v28 
             
	;;#ASMEND
	;;#ASMSTART
	
             v_fmac_f32 v61, v32, v29 
             
	;;#ASMEND
	;; [unrolled: 5-line block ×16, first 2 shown]
	ds_read_b128 v[28:31], v95 offset:28160
	;;#ASMSTART
	
             v_fmac_f32 v56, v32, v20 
             
	;;#ASMEND
	;;#ASMSTART
	
             v_fmac_f32 v57, v32, v21 
             
	;;#ASMEND
	;; [unrolled: 5-line block ×16, first 2 shown]
	ds_read_b128 v[20:23], v95 offset:28416
	ds_read_b128 v[32:35], v94 offset:12032
	s_waitcnt lgkmcnt(2)
	;;#ASMSTART
	
             v_fmac_f32 v50, v24, v28 
             
	;;#ASMEND
	;;#ASMSTART
	
             v_fmac_f32 v51, v24, v29 
             
	;;#ASMEND
	;; [unrolled: 5-line block ×16, first 2 shown]
	s_waitcnt lgkmcnt(1)
	;;#ASMSTART
	
             v_fmac_f32 v54, v24, v20 
             
	;;#ASMEND
	;;#ASMSTART
	
             v_fmac_f32 v55, v24, v21 
             
	;;#ASMEND
	;; [unrolled: 5-line block ×16, first 2 shown]
	ds_read_b128 v[24:27], v94 offset:12288
	s_waitcnt lgkmcnt(1)
	;;#ASMSTART
	
             v_fmac_f32 v60, v32, v28 
             
	;;#ASMEND
	;;#ASMSTART
	
             v_fmac_f32 v61, v32, v29 
             
	;;#ASMEND
	;; [unrolled: 5-line block ×16, first 2 shown]
	ds_read_b128 v[28:31], v95 offset:28672
	;;#ASMSTART
	
             v_fmac_f32 v56, v32, v20 
             
	;;#ASMEND
	;;#ASMSTART
	
             v_fmac_f32 v57, v32, v21 
             
	;;#ASMEND
	;;#ASMSTART
	
             v_fmac_f32 v46, v32, v22 
             
	;;#ASMEND
	;;#ASMSTART
	
             v_fmac_f32 v47, v32, v23 
             
	;;#ASMEND
	;;#ASMSTART
	
             v_fmac_f32 v98, v33, v20 
             
	;;#ASMEND
	;;#ASMSTART
	
             v_fmac_f32 v99, v33, v21 
             
	;;#ASMEND
	;;#ASMSTART
	
             v_fmac_f32 v96, v33, v22 
             
	;;#ASMEND
	;;#ASMSTART
	
             v_fmac_f32 v97, v33, v23 
             
	;;#ASMEND
	;;#ASMSTART
	
             v_fmac_f32 v114, v34, v20 
             
	;;#ASMEND
	;;#ASMSTART
	
             v_fmac_f32 v115, v34, v21 
             
	;;#ASMEND
	;;#ASMSTART
	
             v_fmac_f32 v112, v34, v22 
             
	;;#ASMEND
	;;#ASMSTART
	
             v_fmac_f32 v113, v34, v23 
             
	;;#ASMEND
	;;#ASMSTART
	
             v_fmac_f32 v16, v35, v20 
             
	;;#ASMEND
	;;#ASMSTART
	
             v_fmac_f32 v17, v35, v21 
             
	;;#ASMEND
	;;#ASMSTART
	
             v_fmac_f32 v40, v35, v22 
             
	;;#ASMEND
	;;#ASMSTART
	
             v_fmac_f32 v41, v35, v23 
             
	;;#ASMEND
	ds_read_b128 v[20:23], v95 offset:28928
	ds_read_b128 v[32:35], v94 offset:12544
	s_waitcnt lgkmcnt(2)
	;;#ASMSTART
	
             v_fmac_f32 v50, v24, v28 
             
	;;#ASMEND
	;;#ASMSTART
	
             v_fmac_f32 v51, v24, v29 
             
	;;#ASMEND
	;; [unrolled: 5-line block ×16, first 2 shown]
	s_waitcnt lgkmcnt(1)
	;;#ASMSTART
	
             v_fmac_f32 v54, v24, v20 
             
	;;#ASMEND
	;;#ASMSTART
	
             v_fmac_f32 v55, v24, v21 
             
	;;#ASMEND
	;; [unrolled: 5-line block ×16, first 2 shown]
	ds_read_b128 v[24:27], v94 offset:12800
	s_waitcnt lgkmcnt(1)
	;;#ASMSTART
	
             v_fmac_f32 v60, v32, v28 
             
	;;#ASMEND
	;;#ASMSTART
	
             v_fmac_f32 v61, v32, v29 
             
	;;#ASMEND
	;; [unrolled: 5-line block ×16, first 2 shown]
	ds_read_b128 v[28:31], v95 offset:29184
	;;#ASMSTART
	
             v_fmac_f32 v56, v32, v20 
             
	;;#ASMEND
	;;#ASMSTART
	
             v_fmac_f32 v57, v32, v21 
             
	;;#ASMEND
	;;#ASMSTART
	
             v_fmac_f32 v46, v32, v22 
             
	;;#ASMEND
	;;#ASMSTART
	
             v_fmac_f32 v47, v32, v23 
             
	;;#ASMEND
	;;#ASMSTART
	
             v_fmac_f32 v98, v33, v20 
             
	;;#ASMEND
	;;#ASMSTART
	
             v_fmac_f32 v99, v33, v21 
             
	;;#ASMEND
	;;#ASMSTART
	
             v_fmac_f32 v96, v33, v22 
             
	;;#ASMEND
	;;#ASMSTART
	
             v_fmac_f32 v97, v33, v23 
             
	;;#ASMEND
	;;#ASMSTART
	
             v_fmac_f32 v114, v34, v20 
             
	;;#ASMEND
	;;#ASMSTART
	
             v_fmac_f32 v115, v34, v21 
             
	;;#ASMEND
	;;#ASMSTART
	
             v_fmac_f32 v112, v34, v22 
             
	;;#ASMEND
	;;#ASMSTART
	
             v_fmac_f32 v113, v34, v23 
             
	;;#ASMEND
	;;#ASMSTART
	
             v_fmac_f32 v16, v35, v20 
             
	;;#ASMEND
	;;#ASMSTART
	
             v_fmac_f32 v17, v35, v21 
             
	;;#ASMEND
	;;#ASMSTART
	
             v_fmac_f32 v40, v35, v22 
             
	;;#ASMEND
	;;#ASMSTART
	
             v_fmac_f32 v41, v35, v23 
             
	;;#ASMEND
	ds_read_b128 v[20:23], v95 offset:29440
	ds_read_b128 v[32:35], v94 offset:13056
	s_waitcnt lgkmcnt(2)
	;;#ASMSTART
	
             v_fmac_f32 v50, v24, v28 
             
	;;#ASMEND
	;;#ASMSTART
	
             v_fmac_f32 v51, v24, v29 
             
	;;#ASMEND
	;; [unrolled: 5-line block ×16, first 2 shown]
	s_waitcnt lgkmcnt(1)
	;;#ASMSTART
	
             v_fmac_f32 v54, v24, v20 
             
	;;#ASMEND
	;;#ASMSTART
	
             v_fmac_f32 v55, v24, v21 
             
	;;#ASMEND
	;; [unrolled: 5-line block ×16, first 2 shown]
	ds_read_b128 v[24:27], v94 offset:13312
	s_waitcnt lgkmcnt(1)
	;;#ASMSTART
	
             v_fmac_f32 v60, v32, v28 
             
	;;#ASMEND
	;;#ASMSTART
	
             v_fmac_f32 v61, v32, v29 
             
	;;#ASMEND
	;; [unrolled: 5-line block ×16, first 2 shown]
	ds_read_b128 v[28:31], v95 offset:29696
	;;#ASMSTART
	
             v_fmac_f32 v56, v32, v20 
             
	;;#ASMEND
	;;#ASMSTART
	
             v_fmac_f32 v57, v32, v21 
             
	;;#ASMEND
	;; [unrolled: 5-line block ×16, first 2 shown]
	ds_read_b128 v[20:23], v95 offset:29952
	ds_read_b128 v[32:35], v94 offset:13568
	s_waitcnt lgkmcnt(2)
	;;#ASMSTART
	
             v_fmac_f32 v50, v24, v28 
             
	;;#ASMEND
	;;#ASMSTART
	
             v_fmac_f32 v51, v24, v29 
             
	;;#ASMEND
	;; [unrolled: 5-line block ×16, first 2 shown]
	s_waitcnt lgkmcnt(1)
	;;#ASMSTART
	
             v_fmac_f32 v54, v24, v20 
             
	;;#ASMEND
	;;#ASMSTART
	
             v_fmac_f32 v55, v24, v21 
             
	;;#ASMEND
	;; [unrolled: 5-line block ×16, first 2 shown]
	ds_read_b128 v[24:27], v94 offset:13824
	s_waitcnt lgkmcnt(1)
	;;#ASMSTART
	
             v_fmac_f32 v60, v32, v28 
             
	;;#ASMEND
	;;#ASMSTART
	
             v_fmac_f32 v61, v32, v29 
             
	;;#ASMEND
	;; [unrolled: 5-line block ×16, first 2 shown]
	ds_read_b128 v[28:31], v95 offset:30208
	;;#ASMSTART
	
             v_fmac_f32 v56, v32, v20 
             
	;;#ASMEND
	;;#ASMSTART
	
             v_fmac_f32 v57, v32, v21 
             
	;;#ASMEND
	;; [unrolled: 5-line block ×16, first 2 shown]
	ds_read_b128 v[20:23], v95 offset:30464
	ds_read_b128 v[32:35], v94 offset:14080
	s_waitcnt lgkmcnt(2)
	;;#ASMSTART
	
             v_fmac_f32 v50, v24, v28 
             
	;;#ASMEND
	;;#ASMSTART
	
             v_fmac_f32 v51, v24, v29 
             
	;;#ASMEND
	;;#ASMSTART
	
             v_fmac_f32 v48, v24, v30 
             
	;;#ASMEND
	;;#ASMSTART
	
             v_fmac_f32 v49, v24, v31 
             
	;;#ASMEND
	;;#ASMSTART
	
             v_fmac_f32 v76, v25, v28 
             
	;;#ASMEND
	;;#ASMSTART
	
             v_fmac_f32 v77, v25, v29 
             
	;;#ASMEND
	;;#ASMSTART
	
             v_fmac_f32 v74, v25, v30 
             
	;;#ASMEND
	;;#ASMSTART
	
             v_fmac_f32 v75, v25, v31 
             
	;;#ASMEND
	;;#ASMSTART
	
             v_fmac_f32 v66, v26, v28 
             
	;;#ASMEND
	;;#ASMSTART
	
             v_fmac_f32 v67, v26, v29 
             
	;;#ASMEND
	;;#ASMSTART
	
             v_fmac_f32 v64, v26, v30 
             
	;;#ASMEND
	;;#ASMSTART
	
             v_fmac_f32 v65, v26, v31 
             
	;;#ASMEND
	;;#ASMSTART
	
             v_fmac_f32 v72, v27, v28 
             
	;;#ASMEND
	;;#ASMSTART
	
             v_fmac_f32 v73, v27, v29 
             
	;;#ASMEND
	;;#ASMSTART
	
             v_fmac_f32 v62, v27, v30 
             
	;;#ASMEND
	;;#ASMSTART
	
             v_fmac_f32 v63, v27, v31 
             
	;;#ASMEND
	s_waitcnt lgkmcnt(1)
	;;#ASMSTART
	
             v_fmac_f32 v54, v24, v20 
             
	;;#ASMEND
	;;#ASMSTART
	
             v_fmac_f32 v55, v24, v21 
             
	;;#ASMEND
	;; [unrolled: 5-line block ×16, first 2 shown]
	ds_read_b128 v[24:27], v94 offset:14336
	s_waitcnt lgkmcnt(1)
	;;#ASMSTART
	
             v_fmac_f32 v60, v32, v28 
             
	;;#ASMEND
	;;#ASMSTART
	
             v_fmac_f32 v61, v32, v29 
             
	;;#ASMEND
	;; [unrolled: 5-line block ×16, first 2 shown]
	ds_read_b128 v[28:31], v95 offset:30720
	;;#ASMSTART
	
             v_fmac_f32 v56, v32, v20 
             
	;;#ASMEND
	;;#ASMSTART
	
             v_fmac_f32 v57, v32, v21 
             
	;;#ASMEND
	;; [unrolled: 5-line block ×16, first 2 shown]
	ds_read_b128 v[20:23], v95 offset:30976
	ds_read_b128 v[32:35], v94 offset:14592
	s_waitcnt lgkmcnt(2)
	;;#ASMSTART
	
             v_fmac_f32 v50, v24, v28 
             
	;;#ASMEND
	;;#ASMSTART
	
             v_fmac_f32 v51, v24, v29 
             
	;;#ASMEND
	;; [unrolled: 5-line block ×16, first 2 shown]
	s_waitcnt lgkmcnt(1)
	;;#ASMSTART
	
             v_fmac_f32 v54, v24, v20 
             
	;;#ASMEND
	;;#ASMSTART
	
             v_fmac_f32 v55, v24, v21 
             
	;;#ASMEND
	;; [unrolled: 5-line block ×16, first 2 shown]
	ds_read_b128 v[24:27], v94 offset:14848
	s_waitcnt lgkmcnt(1)
	;;#ASMSTART
	
             v_fmac_f32 v60, v32, v28 
             
	;;#ASMEND
	;;#ASMSTART
	
             v_fmac_f32 v61, v32, v29 
             
	;;#ASMEND
	;; [unrolled: 5-line block ×16, first 2 shown]
	ds_read_b128 v[28:31], v95 offset:31232
	;;#ASMSTART
	
             v_fmac_f32 v56, v32, v20 
             
	;;#ASMEND
	;;#ASMSTART
	
             v_fmac_f32 v57, v32, v21 
             
	;;#ASMEND
	;; [unrolled: 5-line block ×16, first 2 shown]
	ds_read_b128 v[20:23], v95 offset:31488
	ds_read_b128 v[32:35], v94 offset:15104
	s_waitcnt lgkmcnt(2)
	;;#ASMSTART
	
             v_fmac_f32 v50, v24, v28 
             
	;;#ASMEND
	;;#ASMSTART
	
             v_fmac_f32 v51, v24, v29 
             
	;;#ASMEND
	;; [unrolled: 5-line block ×16, first 2 shown]
	s_waitcnt lgkmcnt(1)
	;;#ASMSTART
	
             v_fmac_f32 v54, v24, v20 
             
	;;#ASMEND
	;;#ASMSTART
	
             v_fmac_f32 v55, v24, v21 
             
	;;#ASMEND
	;; [unrolled: 5-line block ×16, first 2 shown]
	ds_read_b128 v[24:27], v94 offset:15360
	s_waitcnt lgkmcnt(1)
	;;#ASMSTART
	
             v_fmac_f32 v60, v32, v28 
             
	;;#ASMEND
	;;#ASMSTART
	
             v_fmac_f32 v61, v32, v29 
             
	;;#ASMEND
	;; [unrolled: 5-line block ×16, first 2 shown]
	ds_read_b128 v[28:31], v95 offset:31744
	;;#ASMSTART
	
             v_fmac_f32 v56, v32, v20 
             
	;;#ASMEND
	;;#ASMSTART
	
             v_fmac_f32 v57, v32, v21 
             
	;;#ASMEND
	;; [unrolled: 5-line block ×16, first 2 shown]
	ds_read_b128 v[20:23], v95 offset:32000
	ds_read_b128 v[36:39], v94 offset:15616
	s_waitcnt lgkmcnt(2)
	;;#ASMSTART
	
             v_fmac_f32 v50, v24, v28 
             
	;;#ASMEND
	;;#ASMSTART
	
             v_fmac_f32 v51, v24, v29 
             
	;;#ASMEND
	;; [unrolled: 5-line block ×16, first 2 shown]
	s_waitcnt lgkmcnt(1)
	;;#ASMSTART
	
             v_fmac_f32 v54, v24, v20 
             
	;;#ASMEND
	;;#ASMSTART
	
             v_fmac_f32 v55, v24, v21 
             
	;;#ASMEND
	;; [unrolled: 5-line block ×16, first 2 shown]
	ds_read_b128 v[32:35], v94 offset:15872
	s_waitcnt lgkmcnt(1)
	;;#ASMSTART
	
             v_fmac_f32 v60, v36, v28 
             
	;;#ASMEND
	;;#ASMSTART
	
             v_fmac_f32 v61, v36, v29 
             
	;;#ASMEND
	;; [unrolled: 5-line block ×16, first 2 shown]
	ds_read_b128 v[28:31], v95 offset:32256
	;;#ASMSTART
	
             v_fmac_f32 v56, v36, v20 
             
	;;#ASMEND
	;;#ASMSTART
	
             v_fmac_f32 v57, v36, v21 
             
	;;#ASMEND
	;; [unrolled: 5-line block ×16, first 2 shown]
	ds_read_b128 v[20:23], v95 offset:32512
	ds_read_b128 v[24:27], v94 offset:16128
	s_waitcnt lgkmcnt(2)
	;;#ASMSTART
	
             v_fmac_f32 v50, v32, v28 
             
	;;#ASMEND
	;;#ASMSTART
	
             v_fmac_f32 v51, v32, v29 
             
	;;#ASMEND
	;; [unrolled: 5-line block ×16, first 2 shown]
	s_waitcnt lgkmcnt(1)
	;;#ASMSTART
	
             v_fmac_f32 v54, v32, v20 
             
	;;#ASMEND
	;;#ASMSTART
	
             v_fmac_f32 v55, v32, v21 
             
	;;#ASMEND
	;; [unrolled: 5-line block ×16, first 2 shown]
	s_waitcnt lgkmcnt(0)
	;;#ASMSTART
	
             v_fmac_f32 v60, v24, v28 
             
	;;#ASMEND
	;;#ASMSTART
	
             v_fmac_f32 v61, v24, v29 
             
	;;#ASMEND
	;; [unrolled: 5-line block ×29, first 2 shown]
	v_accvgpr_read_b32 v20, a13
	;;#ASMSTART
	
             v_fmac_f32 v17, v27, v21 
             
	;;#ASMEND
	;;#ASMSTART
	
             v_fmac_f32 v40, v27, v22 
             
	;;#ASMEND
	;; [unrolled: 5-line block ×3, first 2 shown]
	ds_write2st64_b32 v106, v111, v107 offset1:2
	ds_write2st64_b32 v106, v105, v20 offset0:4 offset1:6
	ds_write2st64_b32 v106, v123, v122 offset0:8 offset1:10
	;; [unrolled: 1-line block ×3, first 2 shown]
	ds_write_b32 v106, v127 offset:16384
	s_add_i32 s26, s26, 32
	v_accvgpr_read_b32 v20, a9
	v_cmp_ge_i32_e32 vcc, s26, v20
	v_accvgpr_read_b32 v21, a10
	s_or_b64 s[20:21], vcc, s[20:21]
	ds_write2st64_b32 v21, v126, v125 offset0:2 offset1:4
	ds_write2st64_b32 v21, v124, v104 offset0:6 offset1:8
	;; [unrolled: 1-line block ×3, first 2 shown]
	ds_write_b32 v21, v108 offset:3584
	s_andn2_b64 exec, exec, s[20:21]
	s_cbranch_execnz .LBB9_9
; %bb.26:
	s_or_b64 exec, exec, s[20:21]
	s_waitcnt lgkmcnt(0)
	s_barrier
	ds_read_b128 v[8:11], v94
	ds_read_b128 v[20:23], v95 offset:16384
	ds_read_b128 v[0:3], v95 offset:16640
	;; [unrolled: 1-line block ×3, first 2 shown]
	s_waitcnt lgkmcnt(2)
	;;#ASMSTART
	
             v_fmac_f32 v50, v8, v20 
             
	;;#ASMEND
	;;#ASMSTART
	
             v_fmac_f32 v51, v8, v21 
             
	;;#ASMEND
	;; [unrolled: 5-line block ×16, first 2 shown]
	s_waitcnt lgkmcnt(1)
	;;#ASMSTART
	
             v_fmac_f32 v54, v8, v0 
             
	;;#ASMEND
	;;#ASMSTART
	
             v_fmac_f32 v55, v8, v1 
             
	;;#ASMEND
	;; [unrolled: 5-line block ×16, first 2 shown]
	ds_read_b128 v[8:11], v94 offset:512
	s_waitcnt lgkmcnt(1)
	;;#ASMSTART
	
             v_fmac_f32 v60, v24, v20 
             
	;;#ASMEND
	;;#ASMSTART
	
             v_fmac_f32 v61, v24, v21 
             
	;;#ASMEND
	;; [unrolled: 5-line block ×16, first 2 shown]
	ds_read_b128 v[20:23], v95 offset:16896
	;;#ASMSTART
	
             v_fmac_f32 v56, v24, v0 
             
	;;#ASMEND
	;;#ASMSTART
	
             v_fmac_f32 v57, v24, v1 
             
	;;#ASMEND
	;; [unrolled: 5-line block ×16, first 2 shown]
	ds_read_b128 v[0:3], v95 offset:17152
	ds_read_b128 v[24:27], v94 offset:768
	s_waitcnt lgkmcnt(2)
	;;#ASMSTART
	
             v_fmac_f32 v50, v8, v20 
             
	;;#ASMEND
	;;#ASMSTART
	
             v_fmac_f32 v51, v8, v21 
             
	;;#ASMEND
	;; [unrolled: 5-line block ×16, first 2 shown]
	s_waitcnt lgkmcnt(1)
	;;#ASMSTART
	
             v_fmac_f32 v54, v8, v0 
             
	;;#ASMEND
	;;#ASMSTART
	
             v_fmac_f32 v55, v8, v1 
             
	;;#ASMEND
	;; [unrolled: 5-line block ×16, first 2 shown]
	ds_read_b128 v[8:11], v94 offset:1024
	s_waitcnt lgkmcnt(1)
	;;#ASMSTART
	
             v_fmac_f32 v60, v24, v20 
             
	;;#ASMEND
	;;#ASMSTART
	
             v_fmac_f32 v61, v24, v21 
             
	;;#ASMEND
	;; [unrolled: 5-line block ×16, first 2 shown]
	ds_read_b128 v[20:23], v95 offset:17408
	;;#ASMSTART
	
             v_fmac_f32 v56, v24, v0 
             
	;;#ASMEND
	;;#ASMSTART
	
             v_fmac_f32 v57, v24, v1 
             
	;;#ASMEND
	;; [unrolled: 5-line block ×16, first 2 shown]
	ds_read_b128 v[0:3], v95 offset:17664
	ds_read_b128 v[24:27], v94 offset:1280
	s_waitcnt lgkmcnt(2)
	;;#ASMSTART
	
             v_fmac_f32 v50, v8, v20 
             
	;;#ASMEND
	;;#ASMSTART
	
             v_fmac_f32 v51, v8, v21 
             
	;;#ASMEND
	;; [unrolled: 5-line block ×16, first 2 shown]
	s_waitcnt lgkmcnt(1)
	;;#ASMSTART
	
             v_fmac_f32 v54, v8, v0 
             
	;;#ASMEND
	;;#ASMSTART
	
             v_fmac_f32 v55, v8, v1 
             
	;;#ASMEND
	;;#ASMSTART
	
             v_fmac_f32 v52, v8, v2 
             
	;;#ASMEND
	;;#ASMSTART
	
             v_fmac_f32 v53, v8, v3 
             
	;;#ASMEND
	;;#ASMSTART
	
             v_fmac_f32 v82, v9, v0 
             
	;;#ASMEND
	;;#ASMSTART
	
             v_fmac_f32 v83, v9, v1 
             
	;;#ASMEND
	;;#ASMSTART
	
             v_fmac_f32 v80, v9, v2 
             
	;;#ASMEND
	;;#ASMSTART
	
             v_fmac_f32 v81, v9, v3 
             
	;;#ASMEND
	;;#ASMSTART
	
             v_fmac_f32 v70, v10, v0 
             
	;;#ASMEND
	;;#ASMSTART
	
             v_fmac_f32 v71, v10, v1 
             
	;;#ASMEND
	;;#ASMSTART
	
             v_fmac_f32 v68, v10, v2 
             
	;;#ASMEND
	;;#ASMSTART
	
             v_fmac_f32 v69, v10, v3 
             
	;;#ASMEND
	;;#ASMSTART
	
             v_fmac_f32 v86, v11, v0 
             
	;;#ASMEND
	;;#ASMSTART
	
             v_fmac_f32 v87, v11, v1 
             
	;;#ASMEND
	;;#ASMSTART
	
             v_fmac_f32 v84, v11, v2 
             
	;;#ASMEND
	;;#ASMSTART
	
             v_fmac_f32 v85, v11, v3 
             
	;;#ASMEND
	ds_read_b128 v[8:11], v94 offset:1536
	s_waitcnt lgkmcnt(1)
	;;#ASMSTART
	
             v_fmac_f32 v60, v24, v20 
             
	;;#ASMEND
	;;#ASMSTART
	
             v_fmac_f32 v61, v24, v21 
             
	;;#ASMEND
	;; [unrolled: 5-line block ×16, first 2 shown]
	ds_read_b128 v[20:23], v95 offset:17920
	;;#ASMSTART
	
             v_fmac_f32 v56, v24, v0 
             
	;;#ASMEND
	;;#ASMSTART
	
             v_fmac_f32 v57, v24, v1 
             
	;;#ASMEND
	;; [unrolled: 5-line block ×16, first 2 shown]
	ds_read_b128 v[0:3], v95 offset:18176
	ds_read_b128 v[24:27], v94 offset:1792
	s_waitcnt lgkmcnt(2)
	;;#ASMSTART
	
             v_fmac_f32 v50, v8, v20 
             
	;;#ASMEND
	;;#ASMSTART
	
             v_fmac_f32 v51, v8, v21 
             
	;;#ASMEND
	;; [unrolled: 5-line block ×16, first 2 shown]
	s_waitcnt lgkmcnt(1)
	;;#ASMSTART
	
             v_fmac_f32 v54, v8, v0 
             
	;;#ASMEND
	;;#ASMSTART
	
             v_fmac_f32 v55, v8, v1 
             
	;;#ASMEND
	;; [unrolled: 5-line block ×16, first 2 shown]
	ds_read_b128 v[8:11], v94 offset:2048
	s_waitcnt lgkmcnt(1)
	;;#ASMSTART
	
             v_fmac_f32 v60, v24, v20 
             
	;;#ASMEND
	;;#ASMSTART
	
             v_fmac_f32 v61, v24, v21 
             
	;;#ASMEND
	;; [unrolled: 5-line block ×16, first 2 shown]
	ds_read_b128 v[20:23], v95 offset:18432
	;;#ASMSTART
	
             v_fmac_f32 v56, v24, v0 
             
	;;#ASMEND
	;;#ASMSTART
	
             v_fmac_f32 v57, v24, v1 
             
	;;#ASMEND
	;; [unrolled: 5-line block ×16, first 2 shown]
	ds_read_b128 v[0:3], v95 offset:18688
	ds_read_b128 v[24:27], v94 offset:2304
	s_waitcnt lgkmcnt(2)
	;;#ASMSTART
	
             v_fmac_f32 v50, v8, v20 
             
	;;#ASMEND
	;;#ASMSTART
	
             v_fmac_f32 v51, v8, v21 
             
	;;#ASMEND
	;; [unrolled: 5-line block ×16, first 2 shown]
	s_waitcnt lgkmcnt(1)
	;;#ASMSTART
	
             v_fmac_f32 v54, v8, v0 
             
	;;#ASMEND
	;;#ASMSTART
	
             v_fmac_f32 v55, v8, v1 
             
	;;#ASMEND
	;; [unrolled: 5-line block ×16, first 2 shown]
	ds_read_b128 v[8:11], v94 offset:2560
	s_waitcnt lgkmcnt(1)
	;;#ASMSTART
	
             v_fmac_f32 v60, v24, v20 
             
	;;#ASMEND
	;;#ASMSTART
	
             v_fmac_f32 v61, v24, v21 
             
	;;#ASMEND
	;; [unrolled: 5-line block ×16, first 2 shown]
	ds_read_b128 v[20:23], v95 offset:18944
	;;#ASMSTART
	
             v_fmac_f32 v56, v24, v0 
             
	;;#ASMEND
	;;#ASMSTART
	
             v_fmac_f32 v57, v24, v1 
             
	;;#ASMEND
	;; [unrolled: 5-line block ×16, first 2 shown]
	ds_read_b128 v[0:3], v95 offset:19200
	ds_read_b128 v[24:27], v94 offset:2816
	s_waitcnt lgkmcnt(2)
	;;#ASMSTART
	
             v_fmac_f32 v50, v8, v20 
             
	;;#ASMEND
	;;#ASMSTART
	
             v_fmac_f32 v51, v8, v21 
             
	;;#ASMEND
	;; [unrolled: 5-line block ×16, first 2 shown]
	s_waitcnt lgkmcnt(1)
	;;#ASMSTART
	
             v_fmac_f32 v54, v8, v0 
             
	;;#ASMEND
	;;#ASMSTART
	
             v_fmac_f32 v55, v8, v1 
             
	;;#ASMEND
	;; [unrolled: 5-line block ×16, first 2 shown]
	ds_read_b128 v[8:11], v94 offset:3072
	s_waitcnt lgkmcnt(1)
	;;#ASMSTART
	
             v_fmac_f32 v60, v24, v20 
             
	;;#ASMEND
	;;#ASMSTART
	
             v_fmac_f32 v61, v24, v21 
             
	;;#ASMEND
	;;#ASMSTART
	
             v_fmac_f32 v58, v24, v22 
             
	;;#ASMEND
	;;#ASMSTART
	
             v_fmac_f32 v59, v24, v23 
             
	;;#ASMEND
	;;#ASMSTART
	
             v_fmac_f32 v44, v25, v20 
             
	;;#ASMEND
	;;#ASMSTART
	
             v_fmac_f32 v45, v25, v21 
             
	;;#ASMEND
	;;#ASMSTART
	
             v_fmac_f32 v42, v25, v22 
             
	;;#ASMEND
	;;#ASMSTART
	
             v_fmac_f32 v43, v25, v23 
             
	;;#ASMEND
	;;#ASMSTART
	
             v_fmac_f32 v102, v26, v20 
             
	;;#ASMEND
	;;#ASMSTART
	
             v_fmac_f32 v103, v26, v21 
             
	;;#ASMEND
	;;#ASMSTART
	
             v_fmac_f32 v100, v26, v22 
             
	;;#ASMEND
	;;#ASMSTART
	
             v_fmac_f32 v101, v26, v23 
             
	;;#ASMEND
	;;#ASMSTART
	
             v_fmac_f32 v118, v27, v20 
             
	;;#ASMEND
	;;#ASMSTART
	
             v_fmac_f32 v119, v27, v21 
             
	;;#ASMEND
	;;#ASMSTART
	
             v_fmac_f32 v116, v27, v22 
             
	;;#ASMEND
	;;#ASMSTART
	
             v_fmac_f32 v117, v27, v23 
             
	;;#ASMEND
	ds_read_b128 v[20:23], v95 offset:19456
	;;#ASMSTART
	
             v_fmac_f32 v56, v24, v0 
             
	;;#ASMEND
	;;#ASMSTART
	
             v_fmac_f32 v57, v24, v1 
             
	;;#ASMEND
	;;#ASMSTART
	
             v_fmac_f32 v46, v24, v2 
             
	;;#ASMEND
	;;#ASMSTART
	
             v_fmac_f32 v47, v24, v3 
             
	;;#ASMEND
	;;#ASMSTART
	
             v_fmac_f32 v98, v25, v0 
             
	;;#ASMEND
	;;#ASMSTART
	
             v_fmac_f32 v99, v25, v1 
             
	;;#ASMEND
	;;#ASMSTART
	
             v_fmac_f32 v96, v25, v2 
             
	;;#ASMEND
	;;#ASMSTART
	
             v_fmac_f32 v97, v25, v3 
             
	;;#ASMEND
	;;#ASMSTART
	
             v_fmac_f32 v114, v26, v0 
             
	;;#ASMEND
	;;#ASMSTART
	
             v_fmac_f32 v115, v26, v1 
             
	;;#ASMEND
	;;#ASMSTART
	
             v_fmac_f32 v112, v26, v2 
             
	;;#ASMEND
	;;#ASMSTART
	
             v_fmac_f32 v113, v26, v3 
             
	;;#ASMEND
	;;#ASMSTART
	
             v_fmac_f32 v16, v27, v0 
             
	;;#ASMEND
	;;#ASMSTART
	
             v_fmac_f32 v17, v27, v1 
             
	;;#ASMEND
	;;#ASMSTART
	
             v_fmac_f32 v40, v27, v2 
             
	;;#ASMEND
	;;#ASMSTART
	
             v_fmac_f32 v41, v27, v3 
             
	;;#ASMEND
	ds_read_b128 v[0:3], v95 offset:19712
	ds_read_b128 v[24:27], v94 offset:3328
	s_waitcnt lgkmcnt(2)
	;;#ASMSTART
	
             v_fmac_f32 v50, v8, v20 
             
	;;#ASMEND
	;;#ASMSTART
	
             v_fmac_f32 v51, v8, v21 
             
	;;#ASMEND
	;;#ASMSTART
	
             v_fmac_f32 v48, v8, v22 
             
	;;#ASMEND
	;;#ASMSTART
	
             v_fmac_f32 v49, v8, v23 
             
	;;#ASMEND
	;;#ASMSTART
	
             v_fmac_f32 v76, v9, v20 
             
	;;#ASMEND
	;;#ASMSTART
	
             v_fmac_f32 v77, v9, v21 
             
	;;#ASMEND
	;;#ASMSTART
	
             v_fmac_f32 v74, v9, v22 
             
	;;#ASMEND
	;;#ASMSTART
	
             v_fmac_f32 v75, v9, v23 
             
	;;#ASMEND
	;;#ASMSTART
	
             v_fmac_f32 v66, v10, v20 
             
	;;#ASMEND
	;;#ASMSTART
	
             v_fmac_f32 v67, v10, v21 
             
	;;#ASMEND
	;;#ASMSTART
	
             v_fmac_f32 v64, v10, v22 
             
	;;#ASMEND
	;;#ASMSTART
	
             v_fmac_f32 v65, v10, v23 
             
	;;#ASMEND
	;;#ASMSTART
	
             v_fmac_f32 v72, v11, v20 
             
	;;#ASMEND
	;;#ASMSTART
	
             v_fmac_f32 v73, v11, v21 
             
	;;#ASMEND
	;;#ASMSTART
	
             v_fmac_f32 v62, v11, v22 
             
	;;#ASMEND
	;;#ASMSTART
	
             v_fmac_f32 v63, v11, v23 
             
	;;#ASMEND
	s_waitcnt lgkmcnt(1)
	;;#ASMSTART
	
             v_fmac_f32 v54, v8, v0 
             
	;;#ASMEND
	;;#ASMSTART
	
             v_fmac_f32 v55, v8, v1 
             
	;;#ASMEND
	;; [unrolled: 5-line block ×16, first 2 shown]
	ds_read_b128 v[8:11], v94 offset:3584
	s_waitcnt lgkmcnt(1)
	;;#ASMSTART
	
             v_fmac_f32 v60, v24, v20 
             
	;;#ASMEND
	;;#ASMSTART
	
             v_fmac_f32 v61, v24, v21 
             
	;;#ASMEND
	;; [unrolled: 5-line block ×16, first 2 shown]
	ds_read_b128 v[20:23], v95 offset:19968
	;;#ASMSTART
	
             v_fmac_f32 v56, v24, v0 
             
	;;#ASMEND
	;;#ASMSTART
	
             v_fmac_f32 v57, v24, v1 
             
	;;#ASMEND
	;; [unrolled: 5-line block ×16, first 2 shown]
	ds_read_b128 v[0:3], v95 offset:20224
	ds_read_b128 v[24:27], v94 offset:3840
	s_waitcnt lgkmcnt(2)
	;;#ASMSTART
	
             v_fmac_f32 v50, v8, v20 
             
	;;#ASMEND
	;;#ASMSTART
	
             v_fmac_f32 v51, v8, v21 
             
	;;#ASMEND
	;; [unrolled: 5-line block ×16, first 2 shown]
	s_waitcnt lgkmcnt(1)
	;;#ASMSTART
	
             v_fmac_f32 v54, v8, v0 
             
	;;#ASMEND
	;;#ASMSTART
	
             v_fmac_f32 v55, v8, v1 
             
	;;#ASMEND
	;; [unrolled: 5-line block ×16, first 2 shown]
	ds_read_b128 v[8:11], v94 offset:4096
	s_waitcnt lgkmcnt(1)
	;;#ASMSTART
	
             v_fmac_f32 v60, v24, v20 
             
	;;#ASMEND
	;;#ASMSTART
	
             v_fmac_f32 v61, v24, v21 
             
	;;#ASMEND
	;; [unrolled: 5-line block ×16, first 2 shown]
	ds_read_b128 v[20:23], v95 offset:20480
	;;#ASMSTART
	
             v_fmac_f32 v56, v24, v0 
             
	;;#ASMEND
	;;#ASMSTART
	
             v_fmac_f32 v57, v24, v1 
             
	;;#ASMEND
	;; [unrolled: 5-line block ×16, first 2 shown]
	ds_read_b128 v[0:3], v95 offset:20736
	ds_read_b128 v[24:27], v94 offset:4352
	s_waitcnt lgkmcnt(2)
	;;#ASMSTART
	
             v_fmac_f32 v50, v8, v20 
             
	;;#ASMEND
	;;#ASMSTART
	
             v_fmac_f32 v51, v8, v21 
             
	;;#ASMEND
	;; [unrolled: 5-line block ×16, first 2 shown]
	s_waitcnt lgkmcnt(1)
	;;#ASMSTART
	
             v_fmac_f32 v54, v8, v0 
             
	;;#ASMEND
	;;#ASMSTART
	
             v_fmac_f32 v55, v8, v1 
             
	;;#ASMEND
	;; [unrolled: 5-line block ×16, first 2 shown]
	ds_read_b128 v[8:11], v94 offset:4608
	s_waitcnt lgkmcnt(1)
	;;#ASMSTART
	
             v_fmac_f32 v60, v24, v20 
             
	;;#ASMEND
	;;#ASMSTART
	
             v_fmac_f32 v61, v24, v21 
             
	;;#ASMEND
	;; [unrolled: 5-line block ×16, first 2 shown]
	ds_read_b128 v[20:23], v95 offset:20992
	;;#ASMSTART
	
             v_fmac_f32 v56, v24, v0 
             
	;;#ASMEND
	;;#ASMSTART
	
             v_fmac_f32 v57, v24, v1 
             
	;;#ASMEND
	;; [unrolled: 5-line block ×16, first 2 shown]
	ds_read_b128 v[0:3], v95 offset:21248
	ds_read_b128 v[24:27], v94 offset:4864
	s_waitcnt lgkmcnt(2)
	;;#ASMSTART
	
             v_fmac_f32 v50, v8, v20 
             
	;;#ASMEND
	;;#ASMSTART
	
             v_fmac_f32 v51, v8, v21 
             
	;;#ASMEND
	;; [unrolled: 5-line block ×16, first 2 shown]
	s_waitcnt lgkmcnt(1)
	;;#ASMSTART
	
             v_fmac_f32 v54, v8, v0 
             
	;;#ASMEND
	;;#ASMSTART
	
             v_fmac_f32 v55, v8, v1 
             
	;;#ASMEND
	;;#ASMSTART
	
             v_fmac_f32 v52, v8, v2 
             
	;;#ASMEND
	;;#ASMSTART
	
             v_fmac_f32 v53, v8, v3 
             
	;;#ASMEND
	;;#ASMSTART
	
             v_fmac_f32 v82, v9, v0 
             
	;;#ASMEND
	;;#ASMSTART
	
             v_fmac_f32 v83, v9, v1 
             
	;;#ASMEND
	;;#ASMSTART
	
             v_fmac_f32 v80, v9, v2 
             
	;;#ASMEND
	;;#ASMSTART
	
             v_fmac_f32 v81, v9, v3 
             
	;;#ASMEND
	;;#ASMSTART
	
             v_fmac_f32 v70, v10, v0 
             
	;;#ASMEND
	;;#ASMSTART
	
             v_fmac_f32 v71, v10, v1 
             
	;;#ASMEND
	;;#ASMSTART
	
             v_fmac_f32 v68, v10, v2 
             
	;;#ASMEND
	;;#ASMSTART
	
             v_fmac_f32 v69, v10, v3 
             
	;;#ASMEND
	;;#ASMSTART
	
             v_fmac_f32 v86, v11, v0 
             
	;;#ASMEND
	;;#ASMSTART
	
             v_fmac_f32 v87, v11, v1 
             
	;;#ASMEND
	;;#ASMSTART
	
             v_fmac_f32 v84, v11, v2 
             
	;;#ASMEND
	;;#ASMSTART
	
             v_fmac_f32 v85, v11, v3 
             
	;;#ASMEND
	ds_read_b128 v[8:11], v94 offset:5120
	s_waitcnt lgkmcnt(1)
	;;#ASMSTART
	
             v_fmac_f32 v60, v24, v20 
             
	;;#ASMEND
	;;#ASMSTART
	
             v_fmac_f32 v61, v24, v21 
             
	;;#ASMEND
	;; [unrolled: 5-line block ×16, first 2 shown]
	ds_read_b128 v[20:23], v95 offset:21504
	;;#ASMSTART
	
             v_fmac_f32 v56, v24, v0 
             
	;;#ASMEND
	;;#ASMSTART
	
             v_fmac_f32 v57, v24, v1 
             
	;;#ASMEND
	;; [unrolled: 5-line block ×16, first 2 shown]
	ds_read_b128 v[0:3], v95 offset:21760
	ds_read_b128 v[24:27], v94 offset:5376
	s_waitcnt lgkmcnt(2)
	;;#ASMSTART
	
             v_fmac_f32 v50, v8, v20 
             
	;;#ASMEND
	;;#ASMSTART
	
             v_fmac_f32 v51, v8, v21 
             
	;;#ASMEND
	;; [unrolled: 5-line block ×16, first 2 shown]
	s_waitcnt lgkmcnt(1)
	;;#ASMSTART
	
             v_fmac_f32 v54, v8, v0 
             
	;;#ASMEND
	;;#ASMSTART
	
             v_fmac_f32 v55, v8, v1 
             
	;;#ASMEND
	;; [unrolled: 5-line block ×16, first 2 shown]
	ds_read_b128 v[8:11], v94 offset:5632
	s_waitcnt lgkmcnt(1)
	;;#ASMSTART
	
             v_fmac_f32 v60, v24, v20 
             
	;;#ASMEND
	;;#ASMSTART
	
             v_fmac_f32 v61, v24, v21 
             
	;;#ASMEND
	;; [unrolled: 5-line block ×16, first 2 shown]
	ds_read_b128 v[20:23], v95 offset:22016
	;;#ASMSTART
	
             v_fmac_f32 v56, v24, v0 
             
	;;#ASMEND
	;;#ASMSTART
	
             v_fmac_f32 v57, v24, v1 
             
	;;#ASMEND
	;; [unrolled: 5-line block ×16, first 2 shown]
	ds_read_b128 v[0:3], v95 offset:22272
	ds_read_b128 v[24:27], v94 offset:5888
	s_waitcnt lgkmcnt(2)
	;;#ASMSTART
	
             v_fmac_f32 v50, v8, v20 
             
	;;#ASMEND
	;;#ASMSTART
	
             v_fmac_f32 v51, v8, v21 
             
	;;#ASMEND
	;; [unrolled: 5-line block ×16, first 2 shown]
	s_waitcnt lgkmcnt(1)
	;;#ASMSTART
	
             v_fmac_f32 v54, v8, v0 
             
	;;#ASMEND
	;;#ASMSTART
	
             v_fmac_f32 v55, v8, v1 
             
	;;#ASMEND
	;; [unrolled: 5-line block ×16, first 2 shown]
	ds_read_b128 v[8:11], v94 offset:6144
	s_waitcnt lgkmcnt(1)
	;;#ASMSTART
	
             v_fmac_f32 v60, v24, v20 
             
	;;#ASMEND
	;;#ASMSTART
	
             v_fmac_f32 v61, v24, v21 
             
	;;#ASMEND
	;; [unrolled: 5-line block ×16, first 2 shown]
	ds_read_b128 v[20:23], v95 offset:22528
	;;#ASMSTART
	
             v_fmac_f32 v56, v24, v0 
             
	;;#ASMEND
	;;#ASMSTART
	
             v_fmac_f32 v57, v24, v1 
             
	;;#ASMEND
	;; [unrolled: 5-line block ×16, first 2 shown]
	ds_read_b128 v[0:3], v95 offset:22784
	ds_read_b128 v[24:27], v94 offset:6400
	s_waitcnt lgkmcnt(2)
	;;#ASMSTART
	
             v_fmac_f32 v50, v8, v20 
             
	;;#ASMEND
	;;#ASMSTART
	
             v_fmac_f32 v51, v8, v21 
             
	;;#ASMEND
	;; [unrolled: 5-line block ×16, first 2 shown]
	s_waitcnt lgkmcnt(1)
	;;#ASMSTART
	
             v_fmac_f32 v54, v8, v0 
             
	;;#ASMEND
	;;#ASMSTART
	
             v_fmac_f32 v55, v8, v1 
             
	;;#ASMEND
	;; [unrolled: 5-line block ×16, first 2 shown]
	ds_read_b128 v[8:11], v94 offset:6656
	s_waitcnt lgkmcnt(1)
	;;#ASMSTART
	
             v_fmac_f32 v60, v24, v20 
             
	;;#ASMEND
	;;#ASMSTART
	
             v_fmac_f32 v61, v24, v21 
             
	;;#ASMEND
	;; [unrolled: 5-line block ×16, first 2 shown]
	ds_read_b128 v[20:23], v95 offset:23040
	;;#ASMSTART
	
             v_fmac_f32 v56, v24, v0 
             
	;;#ASMEND
	;;#ASMSTART
	
             v_fmac_f32 v57, v24, v1 
             
	;;#ASMEND
	;; [unrolled: 5-line block ×16, first 2 shown]
	ds_read_b128 v[0:3], v95 offset:23296
	ds_read_b128 v[24:27], v94 offset:6912
	s_waitcnt lgkmcnt(2)
	;;#ASMSTART
	
             v_fmac_f32 v50, v8, v20 
             
	;;#ASMEND
	;;#ASMSTART
	
             v_fmac_f32 v51, v8, v21 
             
	;;#ASMEND
	;; [unrolled: 5-line block ×16, first 2 shown]
	s_waitcnt lgkmcnt(1)
	;;#ASMSTART
	
             v_fmac_f32 v54, v8, v0 
             
	;;#ASMEND
	;;#ASMSTART
	
             v_fmac_f32 v55, v8, v1 
             
	;;#ASMEND
	;;#ASMSTART
	
             v_fmac_f32 v52, v8, v2 
             
	;;#ASMEND
	;;#ASMSTART
	
             v_fmac_f32 v53, v8, v3 
             
	;;#ASMEND
	;;#ASMSTART
	
             v_fmac_f32 v82, v9, v0 
             
	;;#ASMEND
	;;#ASMSTART
	
             v_fmac_f32 v83, v9, v1 
             
	;;#ASMEND
	;;#ASMSTART
	
             v_fmac_f32 v80, v9, v2 
             
	;;#ASMEND
	;;#ASMSTART
	
             v_fmac_f32 v81, v9, v3 
             
	;;#ASMEND
	;;#ASMSTART
	
             v_fmac_f32 v70, v10, v0 
             
	;;#ASMEND
	;;#ASMSTART
	
             v_fmac_f32 v71, v10, v1 
             
	;;#ASMEND
	;;#ASMSTART
	
             v_fmac_f32 v68, v10, v2 
             
	;;#ASMEND
	;;#ASMSTART
	
             v_fmac_f32 v69, v10, v3 
             
	;;#ASMEND
	;;#ASMSTART
	
             v_fmac_f32 v86, v11, v0 
             
	;;#ASMEND
	;;#ASMSTART
	
             v_fmac_f32 v87, v11, v1 
             
	;;#ASMEND
	;;#ASMSTART
	
             v_fmac_f32 v84, v11, v2 
             
	;;#ASMEND
	;;#ASMSTART
	
             v_fmac_f32 v85, v11, v3 
             
	;;#ASMEND
	ds_read_b128 v[8:11], v94 offset:7168
	s_waitcnt lgkmcnt(1)
	;;#ASMSTART
	
             v_fmac_f32 v60, v24, v20 
             
	;;#ASMEND
	;;#ASMSTART
	
             v_fmac_f32 v61, v24, v21 
             
	;;#ASMEND
	;; [unrolled: 5-line block ×16, first 2 shown]
	ds_read_b128 v[20:23], v95 offset:23552
	;;#ASMSTART
	
             v_fmac_f32 v56, v24, v0 
             
	;;#ASMEND
	;;#ASMSTART
	
             v_fmac_f32 v57, v24, v1 
             
	;;#ASMEND
	;; [unrolled: 5-line block ×16, first 2 shown]
	ds_read_b128 v[0:3], v95 offset:23808
	ds_read_b128 v[24:27], v94 offset:7424
	s_waitcnt lgkmcnt(2)
	;;#ASMSTART
	
             v_fmac_f32 v50, v8, v20 
             
	;;#ASMEND
	;;#ASMSTART
	
             v_fmac_f32 v51, v8, v21 
             
	;;#ASMEND
	;; [unrolled: 5-line block ×16, first 2 shown]
	s_waitcnt lgkmcnt(1)
	;;#ASMSTART
	
             v_fmac_f32 v54, v8, v0 
             
	;;#ASMEND
	;;#ASMSTART
	
             v_fmac_f32 v55, v8, v1 
             
	;;#ASMEND
	;; [unrolled: 5-line block ×16, first 2 shown]
	ds_read_b128 v[8:11], v94 offset:7680
	s_waitcnt lgkmcnt(1)
	;;#ASMSTART
	
             v_fmac_f32 v60, v24, v20 
             
	;;#ASMEND
	;;#ASMSTART
	
             v_fmac_f32 v61, v24, v21 
             
	;;#ASMEND
	;; [unrolled: 5-line block ×16, first 2 shown]
	ds_read_b128 v[20:23], v95 offset:24064
	;;#ASMSTART
	
             v_fmac_f32 v56, v24, v0 
             
	;;#ASMEND
	;;#ASMSTART
	
             v_fmac_f32 v57, v24, v1 
             
	;;#ASMEND
	;; [unrolled: 5-line block ×16, first 2 shown]
	ds_read_b128 v[0:3], v95 offset:24320
	ds_read_b128 v[24:27], v94 offset:7936
	s_waitcnt lgkmcnt(2)
	;;#ASMSTART
	
             v_fmac_f32 v50, v8, v20 
             
	;;#ASMEND
	;;#ASMSTART
	
             v_fmac_f32 v51, v8, v21 
             
	;;#ASMEND
	;; [unrolled: 5-line block ×16, first 2 shown]
	s_waitcnt lgkmcnt(1)
	;;#ASMSTART
	
             v_fmac_f32 v54, v8, v0 
             
	;;#ASMEND
	;;#ASMSTART
	
             v_fmac_f32 v55, v8, v1 
             
	;;#ASMEND
	;; [unrolled: 5-line block ×16, first 2 shown]
	s_waitcnt lgkmcnt(0)
	;;#ASMSTART
	
             v_fmac_f32 v60, v24, v20 
             
	;;#ASMEND
	;;#ASMSTART
	
             v_fmac_f32 v61, v24, v21 
             
	;;#ASMEND
	;; [unrolled: 5-line block ×30, first 2 shown]
	v_accvgpr_read_b32 v0, a4
	v_accvgpr_read_b32 v1, a5
	;;#ASMSTART
	
             v_fmac_f32 v40, v27, v2 
             
	;;#ASMEND
	;;#ASMSTART
	
             v_fmac_f32 v41, v27, v3 
             
	;;#ASMEND
	flat_load_dwordx2 v[38:39], v[0:1] offset:8
	flat_load_dword v10, v[0:1] offset:32
	flat_load_dword v4, v[0:1] offset:20
	s_nop 0
	flat_load_dword v1, v[0:1] offset:72
	v_accvgpr_read_b32 v0, a3
	v_lshl_add_u32 v14, s24, 7, v0
	v_accvgpr_read_b32 v0, a6
	v_lshl_add_u32 v78, s25, 7, v0
	v_mov_b32_e32 v21, 0x20000
	s_mov_b64 s[16:17], exec
	s_waitcnt vmcnt(0) lgkmcnt(0)
	v_mul_lo_u32 v0, v38, v78
	v_cmp_gt_i32_e32 vcc, v10, v14
	v_cmp_gt_i32_e64 s[6:7], v4, v78
	v_mad_u64_u32 v[8:9], s[4:5], v39, v14, v[0:1]
	s_and_b64 s[4:5], s[6:7], vcc
	v_lshlrev_b32_e32 v20, 2, v1
	v_lshlrev_b32_e32 v5, 2, v8
.LBB9_27:                               ; =>This Inner Loop Header: Depth=1
	v_readfirstlane_b32 s12, v18
	v_readfirstlane_b32 s13, v19
	;; [unrolled: 1-line block ×4, first 2 shown]
	v_cmp_eq_u64_e64 s[8:9], s[12:13], v[18:19]
	v_cmp_eq_u64_e64 s[10:11], s[14:15], v[20:21]
	s_and_b64 s[8:9], s[8:9], s[10:11]
	s_and_saveexec_b64 s[8:9], s[8:9]
	s_nop 0
	buffer_load_dwordx4 v[0:3], v5, s[12:15], 0 offen
                                        ; implicit-def: $vgpr5
	s_xor_b64 exec, exec, s[8:9]
	s_cbranch_execnz .LBB9_27
; %bb.28:
	s_mov_b64 exec, s[16:17]
	s_waitcnt vmcnt(0)
	v_cndmask_b32_e64 v3, 0, v3, s[4:5]
	v_cndmask_b32_e64 v2, 0, v2, s[4:5]
	;; [unrolled: 1-line block ×4, first 2 shown]
	v_add_u32_e32 v15, 64, v14
	v_pk_add_f32 v[0:1], v[50:51], v[0:1]
	v_pk_add_f32 v[2:3], v[48:49], v[2:3]
	v_lshlrev_b32_e32 v5, 6, v39
	v_cmp_gt_i32_e64 s[4:5], v10, v15
	v_max_f32_e32 v51, 0, v3
	v_max_f32_e32 v50, 0, v2
	v_max_f32_e32 v49, 0, v1
	v_max_f32_e32 v48, 0, v0
	s_and_b64 s[6:7], s[6:7], s[4:5]
	v_add_lshl_u32 v9, v8, v5, 2
	s_mov_b64 s[16:17], exec
.LBB9_29:                               ; =>This Inner Loop Header: Depth=1
	v_readfirstlane_b32 s12, v18
	v_readfirstlane_b32 s13, v19
	v_readfirstlane_b32 s14, v20
	v_readfirstlane_b32 s15, v21
	v_cmp_eq_u64_e64 s[8:9], s[12:13], v[18:19]
	v_cmp_eq_u64_e64 s[10:11], s[14:15], v[20:21]
	s_and_b64 s[8:9], s[8:9], s[10:11]
	s_and_saveexec_b64 s[8:9], s[8:9]
	s_nop 0
	buffer_load_dwordx4 v[0:3], v9, s[12:15], 0 offen
                                        ; implicit-def: $vgpr9
	s_xor_b64 exec, exec, s[8:9]
	s_cbranch_execnz .LBB9_29
; %bb.30:
	s_mov_b64 exec, s[16:17]
	s_waitcnt vmcnt(0)
	v_cndmask_b32_e64 v3, 0, v3, s[6:7]
	v_cndmask_b32_e64 v2, 0, v2, s[6:7]
	v_cndmask_b32_e64 v1, 0, v1, s[6:7]
	v_cndmask_b32_e64 v0, 0, v0, s[6:7]
	v_or_b32_e32 v79, 1, v78
	v_pk_add_f32 v[0:1], v[54:55], v[0:1]
	v_pk_add_f32 v[2:3], v[52:53], v[2:3]
	v_add_u32_e32 v8, v8, v38
	v_cmp_gt_i32_e64 s[6:7], v4, v79
	v_max_f32_e32 v55, 0, v3
	v_max_f32_e32 v54, 0, v2
	v_max_f32_e32 v53, 0, v1
	v_max_f32_e32 v52, 0, v0
	s_and_b64 s[8:9], s[6:7], vcc
	v_lshlrev_b32_e32 v9, 2, v8
	s_mov_b64 s[14:15], exec
.LBB9_31:                               ; =>This Inner Loop Header: Depth=1
	v_readfirstlane_b32 s16, v18
	v_readfirstlane_b32 s17, v19
	v_readfirstlane_b32 s18, v20
	v_readfirstlane_b32 s19, v21
	v_cmp_eq_u64_e64 s[10:11], s[16:17], v[18:19]
	v_cmp_eq_u64_e64 s[12:13], s[18:19], v[20:21]
	s_and_b64 s[10:11], s[10:11], s[12:13]
	s_and_saveexec_b64 s[10:11], s[10:11]
	s_nop 0
	buffer_load_dwordx4 v[0:3], v9, s[16:19], 0 offen
                                        ; implicit-def: $vgpr9
	s_xor_b64 exec, exec, s[10:11]
	s_cbranch_execnz .LBB9_31
; %bb.32:
	s_mov_b64 exec, s[14:15]
	s_waitcnt vmcnt(0)
	v_cndmask_b32_e64 v3, 0, v3, s[8:9]
	v_cndmask_b32_e64 v2, 0, v2, s[8:9]
	v_cndmask_b32_e64 v1, 0, v1, s[8:9]
	v_cndmask_b32_e64 v0, 0, v0, s[8:9]
	v_pk_add_f32 v[0:1], v[76:77], v[0:1]
	v_pk_add_f32 v[2:3], v[74:75], v[2:3]
	v_max_f32_e32 v25, 0, v3
	v_max_f32_e32 v24, 0, v2
	v_max_f32_e32 v23, 0, v1
	v_max_f32_e32 v22, 0, v0
	s_and_b64 s[6:7], s[6:7], s[4:5]
	v_add_lshl_u32 v9, v8, v5, 2
	s_mov_b64 s[16:17], exec
.LBB9_33:                               ; =>This Inner Loop Header: Depth=1
	v_readfirstlane_b32 s12, v18
	v_readfirstlane_b32 s13, v19
	v_readfirstlane_b32 s14, v20
	v_readfirstlane_b32 s15, v21
	v_cmp_eq_u64_e64 s[8:9], s[12:13], v[18:19]
	v_cmp_eq_u64_e64 s[10:11], s[14:15], v[20:21]
	s_and_b64 s[8:9], s[8:9], s[10:11]
	s_and_saveexec_b64 s[8:9], s[8:9]
	s_nop 0
	buffer_load_dwordx4 v[0:3], v9, s[12:15], 0 offen
                                        ; implicit-def: $vgpr9
	s_xor_b64 exec, exec, s[8:9]
	s_cbranch_execnz .LBB9_33
; %bb.34:
	s_mov_b64 exec, s[16:17]
	s_waitcnt vmcnt(0)
	v_cndmask_b32_e64 v3, 0, v3, s[6:7]
	v_cndmask_b32_e64 v2, 0, v2, s[6:7]
	v_cndmask_b32_e64 v1, 0, v1, s[6:7]
	v_cndmask_b32_e64 v0, 0, v0, s[6:7]
	v_or_b32_e32 v74, 2, v78
	v_pk_add_f32 v[0:1], v[82:83], v[0:1]
	v_pk_add_f32 v[2:3], v[80:81], v[2:3]
	v_add_u32_e32 v8, v8, v38
	v_cmp_gt_i32_e64 s[6:7], v4, v74
	v_max_f32_e32 v83, 0, v3
	v_max_f32_e32 v82, 0, v2
	v_max_f32_e32 v81, 0, v1
	v_max_f32_e32 v80, 0, v0
	s_and_b64 s[8:9], s[6:7], vcc
	v_lshlrev_b32_e32 v9, 2, v8
	s_mov_b64 s[14:15], exec
.LBB9_35:                               ; =>This Inner Loop Header: Depth=1
	v_readfirstlane_b32 s16, v18
	v_readfirstlane_b32 s17, v19
	v_readfirstlane_b32 s18, v20
	v_readfirstlane_b32 s19, v21
	v_cmp_eq_u64_e64 s[10:11], s[16:17], v[18:19]
	v_cmp_eq_u64_e64 s[12:13], s[18:19], v[20:21]
	s_and_b64 s[10:11], s[10:11], s[12:13]
	s_and_saveexec_b64 s[10:11], s[10:11]
	s_nop 0
	buffer_load_dwordx4 v[0:3], v9, s[16:19], 0 offen
                                        ; implicit-def: $vgpr9
	s_xor_b64 exec, exec, s[10:11]
	s_cbranch_execnz .LBB9_35
; %bb.36:
	s_mov_b64 exec, s[14:15]
	s_waitcnt vmcnt(0)
	v_cndmask_b32_e64 v3, 0, v3, s[8:9]
	v_cndmask_b32_e64 v2, 0, v2, s[8:9]
	v_cndmask_b32_e64 v1, 0, v1, s[8:9]
	v_cndmask_b32_e64 v0, 0, v0, s[8:9]
	v_pk_add_f32 v[0:1], v[66:67], v[0:1]
	v_pk_add_f32 v[2:3], v[64:65], v[2:3]
	;; [unrolled: 63-line block ×3, first 2 shown]
	v_max_f32_e32 v37, 0, v3
	v_max_f32_e32 v36, 0, v2
	;; [unrolled: 1-line block ×4, first 2 shown]
	s_and_b64 s[6:7], s[6:7], s[4:5]
	v_add_lshl_u32 v9, v8, v5, 2
	s_mov_b64 s[16:17], exec
.LBB9_41:                               ; =>This Inner Loop Header: Depth=1
	v_readfirstlane_b32 s12, v18
	v_readfirstlane_b32 s13, v19
	;; [unrolled: 1-line block ×4, first 2 shown]
	v_cmp_eq_u64_e64 s[8:9], s[12:13], v[18:19]
	v_cmp_eq_u64_e64 s[10:11], s[14:15], v[20:21]
	s_and_b64 s[8:9], s[8:9], s[10:11]
	s_and_saveexec_b64 s[8:9], s[8:9]
	s_nop 0
	buffer_load_dwordx4 v[0:3], v9, s[12:15], 0 offen
                                        ; implicit-def: $vgpr9
	s_xor_b64 exec, exec, s[8:9]
	s_cbranch_execnz .LBB9_41
; %bb.42:
	s_mov_b64 exec, s[16:17]
	s_waitcnt vmcnt(0)
	v_cndmask_b32_e64 v3, 0, v3, s[6:7]
	v_cndmask_b32_e64 v2, 0, v2, s[6:7]
	;; [unrolled: 1-line block ×4, first 2 shown]
	v_add_u32_e32 v39, 64, v78
	v_mad_u64_u32 v[26:27], s[6:7], v38, 61, v[8:9]
	v_pk_add_f32 v[0:1], v[86:87], v[0:1]
	v_pk_add_f32 v[2:3], v[84:85], v[2:3]
	v_cmp_gt_i32_e64 s[6:7], v4, v39
	v_max_f32_e32 v87, 0, v3
	v_max_f32_e32 v86, 0, v2
	;; [unrolled: 1-line block ×4, first 2 shown]
	s_and_b64 s[8:9], s[6:7], vcc
	v_lshlrev_b32_e32 v8, 2, v26
	s_mov_b64 s[14:15], exec
.LBB9_43:                               ; =>This Inner Loop Header: Depth=1
	v_readfirstlane_b32 s16, v18
	v_readfirstlane_b32 s17, v19
	;; [unrolled: 1-line block ×4, first 2 shown]
	v_cmp_eq_u64_e64 s[10:11], s[16:17], v[18:19]
	v_cmp_eq_u64_e64 s[12:13], s[18:19], v[20:21]
	s_and_b64 s[10:11], s[10:11], s[12:13]
	s_and_saveexec_b64 s[10:11], s[10:11]
	s_nop 0
	buffer_load_dwordx4 v[0:3], v8, s[16:19], 0 offen
                                        ; implicit-def: $vgpr8
	s_xor_b64 exec, exec, s[10:11]
	s_cbranch_execnz .LBB9_43
; %bb.44:
	s_mov_b64 exec, s[14:15]
	s_waitcnt vmcnt(0)
	v_cndmask_b32_e64 v3, 0, v3, s[8:9]
	v_cndmask_b32_e64 v2, 0, v2, s[8:9]
	;; [unrolled: 1-line block ×4, first 2 shown]
	v_pk_add_f32 v[0:1], v[60:61], v[0:1]
	v_pk_add_f32 v[2:3], v[58:59], v[2:3]
	v_max_f32_e32 v3, 0, v3
	v_max_f32_e32 v2, 0, v2
	;; [unrolled: 1-line block ×4, first 2 shown]
	s_and_b64 s[6:7], s[6:7], s[4:5]
	v_add_lshl_u32 v12, v26, v5, 2
	s_mov_b64 s[16:17], exec
.LBB9_45:                               ; =>This Inner Loop Header: Depth=1
	v_readfirstlane_b32 s12, v18
	v_readfirstlane_b32 s13, v19
	;; [unrolled: 1-line block ×4, first 2 shown]
	v_cmp_eq_u64_e64 s[8:9], s[12:13], v[18:19]
	v_cmp_eq_u64_e64 s[10:11], s[14:15], v[20:21]
	s_and_b64 s[8:9], s[8:9], s[10:11]
	s_and_saveexec_b64 s[8:9], s[8:9]
	s_nop 0
	buffer_load_dwordx4 v[8:11], v12, s[12:15], 0 offen
                                        ; implicit-def: $vgpr12
	s_xor_b64 exec, exec, s[8:9]
	s_cbranch_execnz .LBB9_45
; %bb.46:
	s_mov_b64 exec, s[16:17]
	s_waitcnt vmcnt(0)
	v_cndmask_b32_e64 v11, 0, v11, s[6:7]
	v_cndmask_b32_e64 v10, 0, v10, s[6:7]
	;; [unrolled: 1-line block ×4, first 2 shown]
	v_pk_add_f32 v[8:9], v[56:57], v[8:9]
	v_pk_add_f32 v[10:11], v[46:47], v[10:11]
	v_add_u32_e32 v46, 0x41, v78
	v_max_f32_e32 v12, 0, v10
	v_max_f32_e32 v10, 0, v8
	v_add_u32_e32 v8, v26, v38
	v_cmp_gt_i32_e64 s[6:7], v4, v46
	v_max_f32_e32 v13, 0, v11
	v_max_f32_e32 v11, 0, v9
	s_and_b64 s[8:9], s[6:7], vcc
	v_lshlrev_b32_e32 v9, 2, v8
	s_mov_b64 s[14:15], exec
.LBB9_47:                               ; =>This Inner Loop Header: Depth=1
	v_readfirstlane_b32 s16, v18
	v_readfirstlane_b32 s17, v19
	;; [unrolled: 1-line block ×4, first 2 shown]
	v_cmp_eq_u64_e64 s[10:11], s[16:17], v[18:19]
	v_cmp_eq_u64_e64 s[12:13], s[18:19], v[20:21]
	s_and_b64 s[10:11], s[10:11], s[12:13]
	s_and_saveexec_b64 s[10:11], s[10:11]
	s_nop 0
	buffer_load_dwordx4 v[26:29], v9, s[16:19], 0 offen
                                        ; implicit-def: $vgpr9
	s_xor_b64 exec, exec, s[10:11]
	s_cbranch_execnz .LBB9_47
; %bb.48:
	s_mov_b64 exec, s[14:15]
	s_waitcnt vmcnt(0)
	v_cndmask_b32_e64 v29, 0, v29, s[8:9]
	v_cndmask_b32_e64 v28, 0, v28, s[8:9]
	v_cndmask_b32_e64 v27, 0, v27, s[8:9]
	v_cndmask_b32_e64 v26, 0, v26, s[8:9]
	v_pk_add_f32 v[26:27], v[44:45], v[26:27]
	v_pk_add_f32 v[28:29], v[42:43], v[28:29]
	v_max_f32_e32 v29, 0, v29
	v_max_f32_e32 v28, 0, v28
	;; [unrolled: 1-line block ×4, first 2 shown]
	s_and_b64 s[6:7], s[6:7], s[4:5]
	v_add_lshl_u32 v9, v8, v5, 2
	s_mov_b64 s[16:17], exec
.LBB9_49:                               ; =>This Inner Loop Header: Depth=1
	v_readfirstlane_b32 s12, v18
	v_readfirstlane_b32 s13, v19
	;; [unrolled: 1-line block ×4, first 2 shown]
	v_cmp_eq_u64_e64 s[8:9], s[12:13], v[18:19]
	v_cmp_eq_u64_e64 s[10:11], s[14:15], v[20:21]
	s_and_b64 s[8:9], s[8:9], s[10:11]
	s_and_saveexec_b64 s[8:9], s[8:9]
	s_nop 0
	buffer_load_dwordx4 v[30:33], v9, s[12:15], 0 offen
                                        ; implicit-def: $vgpr9
	s_xor_b64 exec, exec, s[8:9]
	s_cbranch_execnz .LBB9_49
; %bb.50:
	s_mov_b64 exec, s[16:17]
	s_waitcnt vmcnt(0)
	v_cndmask_b32_e64 v33, 0, v33, s[6:7]
	v_cndmask_b32_e64 v32, 0, v32, s[6:7]
	;; [unrolled: 1-line block ×4, first 2 shown]
	v_add_u32_e32 v42, 0x42, v78
	v_pk_add_f32 v[30:31], v[98:99], v[30:31]
	v_pk_add_f32 v[32:33], v[96:97], v[32:33]
	v_add_u32_e32 v8, v8, v38
	v_cmp_gt_i32_e64 s[6:7], v4, v42
	v_max_f32_e32 v33, 0, v33
	v_max_f32_e32 v32, 0, v32
	;; [unrolled: 1-line block ×4, first 2 shown]
	s_and_b64 s[8:9], s[6:7], vcc
	v_lshlrev_b32_e32 v9, 2, v8
	s_mov_b64 s[14:15], exec
.LBB9_51:                               ; =>This Inner Loop Header: Depth=1
	v_readfirstlane_b32 s16, v18
	v_readfirstlane_b32 s17, v19
	;; [unrolled: 1-line block ×4, first 2 shown]
	v_cmp_eq_u64_e64 s[10:11], s[16:17], v[18:19]
	v_cmp_eq_u64_e64 s[12:13], s[18:19], v[20:21]
	s_and_b64 s[10:11], s[10:11], s[12:13]
	s_and_saveexec_b64 s[10:11], s[10:11]
	s_nop 0
	buffer_load_dwordx4 v[96:99], v9, s[16:19], 0 offen
                                        ; implicit-def: $vgpr9
	s_xor_b64 exec, exec, s[10:11]
	s_cbranch_execnz .LBB9_51
; %bb.52:
	s_mov_b64 exec, s[14:15]
	s_waitcnt vmcnt(0)
	v_cndmask_b32_e64 v99, 0, v99, s[8:9]
	v_cndmask_b32_e64 v98, 0, v98, s[8:9]
	v_cndmask_b32_e64 v97, 0, v97, s[8:9]
	v_cndmask_b32_e64 v96, 0, v96, s[8:9]
	v_pk_add_f32 v[96:97], v[102:103], v[96:97]
	v_pk_add_f32 v[98:99], v[100:101], v[98:99]
	v_max_f32_e32 v99, 0, v99
	v_max_f32_e32 v98, 0, v98
	;; [unrolled: 1-line block ×4, first 2 shown]
	s_and_b64 s[6:7], s[6:7], s[4:5]
	v_add_lshl_u32 v9, v8, v5, 2
	s_mov_b64 s[16:17], exec
.LBB9_53:                               ; =>This Inner Loop Header: Depth=1
	v_readfirstlane_b32 s12, v18
	v_readfirstlane_b32 s13, v19
	;; [unrolled: 1-line block ×4, first 2 shown]
	v_cmp_eq_u64_e64 s[8:9], s[12:13], v[18:19]
	v_cmp_eq_u64_e64 s[10:11], s[14:15], v[20:21]
	s_and_b64 s[8:9], s[8:9], s[10:11]
	s_and_saveexec_b64 s[8:9], s[8:9]
	s_nop 0
	buffer_load_dwordx4 v[100:103], v9, s[12:15], 0 offen
                                        ; implicit-def: $vgpr9
	s_xor_b64 exec, exec, s[8:9]
	s_cbranch_execnz .LBB9_53
; %bb.54:
	s_mov_b64 exec, s[16:17]
	s_waitcnt vmcnt(0)
	v_cndmask_b32_e64 v103, 0, v103, s[6:7]
	v_cndmask_b32_e64 v102, 0, v102, s[6:7]
	v_cndmask_b32_e64 v101, 0, v101, s[6:7]
	v_cndmask_b32_e64 v100, 0, v100, s[6:7]
	v_add_u32_e32 v43, 0x43, v78
	v_pk_add_f32 v[100:101], v[114:115], v[100:101]
	v_pk_add_f32 v[102:103], v[112:113], v[102:103]
	v_add_u32_e32 v8, v8, v38
	v_cmp_gt_i32_e64 s[6:7], v4, v43
	v_max_f32_e32 v103, 0, v103
	v_max_f32_e32 v102, 0, v102
	;; [unrolled: 1-line block ×4, first 2 shown]
	s_and_b64 vcc, s[6:7], vcc
	v_lshlrev_b32_e32 v4, 2, v8
	s_mov_b64 s[16:17], exec
.LBB9_55:                               ; =>This Inner Loop Header: Depth=1
	v_readfirstlane_b32 s12, v18
	v_readfirstlane_b32 s13, v19
	v_readfirstlane_b32 s14, v20
	v_readfirstlane_b32 s15, v21
	v_cmp_eq_u64_e64 s[8:9], s[12:13], v[18:19]
	v_cmp_eq_u64_e64 s[10:11], s[14:15], v[20:21]
	s_and_b64 s[8:9], s[8:9], s[10:11]
	s_and_saveexec_b64 s[8:9], s[8:9]
	s_nop 0
	buffer_load_dwordx4 v[112:115], v4, s[12:15], 0 offen
                                        ; implicit-def: $vgpr4
	s_xor_b64 exec, exec, s[8:9]
	s_cbranch_execnz .LBB9_55
; %bb.56:
	s_mov_b64 exec, s[16:17]
	s_waitcnt vmcnt(0)
	v_cndmask_b32_e32 v115, 0, v115, vcc
	v_cndmask_b32_e32 v114, 0, v114, vcc
	;; [unrolled: 1-line block ×4, first 2 shown]
	v_pk_add_f32 v[112:113], v[118:119], v[112:113]
	v_pk_add_f32 v[114:115], v[116:117], v[114:115]
	v_max_f32_e32 v115, 0, v115
	v_max_f32_e32 v114, 0, v114
	;; [unrolled: 1-line block ×4, first 2 shown]
	s_and_b64 vcc, s[6:7], s[4:5]
	v_add_lshl_u32 v4, v8, v5, 2
	s_mov_b64 s[12:13], exec
.LBB9_57:                               ; =>This Inner Loop Header: Depth=1
	v_readfirstlane_b32 s8, v18
	v_readfirstlane_b32 s9, v19
	;; [unrolled: 1-line block ×4, first 2 shown]
	v_cmp_eq_u64_e64 s[4:5], s[8:9], v[18:19]
	v_cmp_eq_u64_e64 s[6:7], s[10:11], v[20:21]
	s_and_b64 s[4:5], s[4:5], s[6:7]
	s_and_saveexec_b64 s[4:5], s[4:5]
	s_nop 0
	buffer_load_dwordx4 v[116:119], v4, s[8:11], 0 offen
                                        ; implicit-def: $vgpr18_vgpr19_vgpr20_vgpr21
                                        ; implicit-def: $vgpr4
	s_xor_b64 exec, exec, s[4:5]
	s_cbranch_execnz .LBB9_57
; %bb.58:
	s_mov_b64 exec, s[12:13]
	v_accvgpr_read_b32 v9, a1
	v_accvgpr_read_b32 v8, a0
	flat_load_dwordx2 v[4:5], v[8:9] offset:8
	flat_load_dword v38, v[8:9] offset:32
	flat_load_dword v44, v[8:9] offset:20
	s_waitcnt vmcnt(0)
	v_cndmask_b32_e32 v19, 0, v119, vcc
	v_cndmask_b32_e32 v18, 0, v118, vcc
	;; [unrolled: 1-line block ×4, first 2 shown]
	v_bfrev_b32_e32 v116, 1
	v_accvgpr_read_b32 v8, a2
	v_pk_add_f32 v[16:17], v[16:17], v[20:21]
	v_pk_add_f32 v[18:19], v[40:41], v[18:19]
	v_lshlrev_b32_e32 v8, 2, v8
	v_mov_b32_e32 v9, 0x20000
	v_max_f32_e32 v19, 0, v19
	v_max_f32_e32 v18, 0, v18
	v_max_f32_e32 v17, 0, v17
	v_max_f32_e32 v16, 0, v16
	s_waitcnt lgkmcnt(0)
	v_mul_lo_u32 v4, v4, v78
	v_cmp_gt_i32_e32 vcc, v38, v14
	v_cmp_gt_i32_e64 s[4:5], v44, v78
	v_mad_u64_u32 v[4:5], s[6:7], v5, v14, v[4:5]
	s_and_b64 s[4:5], s[4:5], vcc
	v_cndmask_b32_e64 v5, v116, 0, s[4:5]
	v_lshl_add_u32 v5, v4, 2, v5
	s_mov_b64 s[6:7], exec
.LBB9_59:                               ; =>This Inner Loop Header: Depth=1
	v_readfirstlane_b32 s8, v6
	v_readfirstlane_b32 s9, v7
	;; [unrolled: 1-line block ×4, first 2 shown]
	v_cmp_eq_u64_e32 vcc, s[8:9], v[6:7]
	v_cmp_eq_u64_e64 s[4:5], s[10:11], v[8:9]
	s_and_b64 s[4:5], vcc, s[4:5]
	s_and_saveexec_b64 s[4:5], s[4:5]
	s_nop 0
	buffer_store_dwordx4 v[48:51], v5, s[8:11], 0 offen
                                        ; implicit-def: $vgpr48_vgpr49_vgpr50_vgpr51
                                        ; implicit-def: $vgpr5
	s_xor_b64 exec, exec, s[4:5]
	s_cbranch_execnz .LBB9_59
; %bb.60:
	s_mov_b64 exec, s[6:7]
	v_accvgpr_read_b32 v49, a1
	v_accvgpr_read_b32 v48, a0
	flat_load_dword v5, v[48:49] offset:12
	flat_load_dword v20, v[48:49] offset:32
	;; [unrolled: 1-line block ×3, first 2 shown]
	v_bfrev_b32_e32 v38, 1
	s_mov_b64 s[6:7], exec
	s_waitcnt vmcnt(0) lgkmcnt(0)
	v_lshl_add_u32 v4, v5, 6, v4
	v_cmp_gt_i32_e32 vcc, v20, v15
	v_cmp_gt_i32_e64 s[4:5], v21, v78
	s_and_b64 s[4:5], s[4:5], vcc
	v_cndmask_b32_e64 v5, v38, 0, s[4:5]
	v_lshl_add_u32 v5, v4, 2, v5
.LBB9_61:                               ; =>This Inner Loop Header: Depth=1
	v_readfirstlane_b32 s8, v6
	v_readfirstlane_b32 s9, v7
	;; [unrolled: 1-line block ×4, first 2 shown]
	v_cmp_eq_u64_e32 vcc, s[8:9], v[6:7]
	v_cmp_eq_u64_e64 s[4:5], s[10:11], v[8:9]
	s_and_b64 s[4:5], vcc, s[4:5]
	s_and_saveexec_b64 s[4:5], s[4:5]
	s_nop 0
	buffer_store_dwordx4 v[52:55], v5, s[8:11], 0 offen
                                        ; implicit-def: $vgpr52_vgpr53_vgpr54_vgpr55
                                        ; implicit-def: $vgpr5
	s_xor_b64 exec, exec, s[4:5]
	s_cbranch_execnz .LBB9_61
; %bb.62:
	s_mov_b64 exec, s[6:7]
	flat_load_dword v5, v[48:49] offset:8
	flat_load_dword v20, v[48:49] offset:32
	;; [unrolled: 1-line block ×3, first 2 shown]
	v_bfrev_b32_e32 v38, 1
	s_mov_b64 s[6:7], exec
	s_waitcnt vmcnt(0) lgkmcnt(0)
	v_add_u32_e32 v4, v5, v4
	v_cmp_gt_i32_e32 vcc, v20, v15
	v_cmp_gt_i32_e64 s[4:5], v21, v79
	s_and_b64 s[4:5], s[4:5], vcc
	v_cndmask_b32_e64 v5, v38, 0, s[4:5]
	v_lshl_add_u32 v5, v4, 2, v5
.LBB9_63:                               ; =>This Inner Loop Header: Depth=1
	v_readfirstlane_b32 s8, v6
	v_readfirstlane_b32 s9, v7
	;; [unrolled: 1-line block ×4, first 2 shown]
	v_cmp_eq_u64_e32 vcc, s[8:9], v[6:7]
	v_cmp_eq_u64_e64 s[4:5], s[10:11], v[8:9]
	s_and_b64 s[4:5], vcc, s[4:5]
	s_and_saveexec_b64 s[4:5], s[4:5]
	s_nop 0
	buffer_store_dwordx4 v[80:83], v5, s[8:11], 0 offen
                                        ; implicit-def: $vgpr80_vgpr81_vgpr82_vgpr83
                                        ; implicit-def: $vgpr5
	s_xor_b64 exec, exec, s[4:5]
	s_cbranch_execnz .LBB9_63
; %bb.64:
	s_mov_b64 exec, s[6:7]
	flat_load_dword v5, v[48:49] offset:12
	flat_load_dword v20, v[48:49] offset:32
	;; [unrolled: 1-line block ×3, first 2 shown]
	v_bfrev_b32_e32 v38, 1
	s_mov_b64 s[6:7], exec
	s_waitcnt vmcnt(0) lgkmcnt(0)
	v_lshlrev_b32_e32 v5, 6, v5
	v_cmp_gt_i32_e32 vcc, v20, v14
	v_cmp_gt_i32_e64 s[4:5], v21, v79
	s_and_b64 s[4:5], s[4:5], vcc
	v_sub_u32_e32 v4, v4, v5
	v_cndmask_b32_e64 v5, v38, 0, s[4:5]
	v_lshl_add_u32 v5, v4, 2, v5
.LBB9_65:                               ; =>This Inner Loop Header: Depth=1
	v_readfirstlane_b32 s8, v6
	v_readfirstlane_b32 s9, v7
	;; [unrolled: 1-line block ×4, first 2 shown]
	v_cmp_eq_u64_e32 vcc, s[8:9], v[6:7]
	v_cmp_eq_u64_e64 s[4:5], s[10:11], v[8:9]
	s_and_b64 s[4:5], vcc, s[4:5]
	s_and_saveexec_b64 s[4:5], s[4:5]
	s_nop 0
	buffer_store_dwordx4 v[22:25], v5, s[8:11], 0 offen
                                        ; implicit-def: $vgpr22_vgpr23_vgpr24_vgpr25
                                        ; implicit-def: $vgpr5
	s_xor_b64 exec, exec, s[4:5]
	s_cbranch_execnz .LBB9_65
; %bb.66:
	s_mov_b64 exec, s[6:7]
	flat_load_dword v5, v[48:49] offset:8
	flat_load_dword v20, v[48:49] offset:32
	;; [unrolled: 1-line block ×3, first 2 shown]
	v_bfrev_b32_e32 v22, 1
	s_mov_b64 s[6:7], exec
	s_waitcnt vmcnt(0) lgkmcnt(0)
	v_add_u32_e32 v4, v5, v4
	v_cmp_gt_i32_e32 vcc, v20, v14
	v_cmp_gt_i32_e64 s[4:5], v21, v74
	s_and_b64 s[4:5], s[4:5], vcc
	v_cndmask_b32_e64 v5, v22, 0, s[4:5]
	v_lshl_add_u32 v5, v4, 2, v5
.LBB9_67:                               ; =>This Inner Loop Header: Depth=1
	v_readfirstlane_b32 s8, v6
	v_readfirstlane_b32 s9, v7
	;; [unrolled: 1-line block ×4, first 2 shown]
	v_cmp_eq_u64_e32 vcc, s[8:9], v[6:7]
	v_cmp_eq_u64_e64 s[4:5], s[10:11], v[8:9]
	s_and_b64 s[4:5], vcc, s[4:5]
	s_and_saveexec_b64 s[4:5], s[4:5]
	s_nop 0
	buffer_store_dwordx4 v[64:67], v5, s[8:11], 0 offen
                                        ; implicit-def: $vgpr64_vgpr65_vgpr66_vgpr67
                                        ; implicit-def: $vgpr5
	s_xor_b64 exec, exec, s[4:5]
	s_cbranch_execnz .LBB9_67
; %bb.68:
	s_mov_b64 exec, s[6:7]
	flat_load_dword v5, v[48:49] offset:12
	flat_load_dword v20, v[48:49] offset:32
	;; [unrolled: 1-line block ×3, first 2 shown]
	v_bfrev_b32_e32 v22, 1
	s_mov_b64 s[6:7], exec
	s_waitcnt vmcnt(0) lgkmcnt(0)
	v_lshl_add_u32 v4, v5, 6, v4
	v_cmp_gt_i32_e32 vcc, v20, v15
	v_cmp_gt_i32_e64 s[4:5], v21, v74
	s_and_b64 s[4:5], s[4:5], vcc
	v_cndmask_b32_e64 v5, v22, 0, s[4:5]
	v_lshl_add_u32 v5, v4, 2, v5
.LBB9_69:                               ; =>This Inner Loop Header: Depth=1
	v_readfirstlane_b32 s8, v6
	v_readfirstlane_b32 s9, v7
	;; [unrolled: 1-line block ×4, first 2 shown]
	v_cmp_eq_u64_e32 vcc, s[8:9], v[6:7]
	v_cmp_eq_u64_e64 s[4:5], s[10:11], v[8:9]
	s_and_b64 s[4:5], vcc, s[4:5]
	s_and_saveexec_b64 s[4:5], s[4:5]
	s_nop 0
	buffer_store_dwordx4 v[68:71], v5, s[8:11], 0 offen
                                        ; implicit-def: $vgpr68_vgpr69_vgpr70_vgpr71
                                        ; implicit-def: $vgpr5
	s_xor_b64 exec, exec, s[4:5]
	s_cbranch_execnz .LBB9_69
; %bb.70:
	s_mov_b64 exec, s[6:7]
	flat_load_dword v5, v[48:49] offset:8
	flat_load_dword v20, v[48:49] offset:32
	;; [unrolled: 1-line block ×3, first 2 shown]
	v_bfrev_b32_e32 v22, 1
	s_mov_b64 s[6:7], exec
	s_waitcnt vmcnt(0) lgkmcnt(0)
	v_add_u32_e32 v4, v5, v4
	v_cmp_gt_i32_e32 vcc, v20, v15
	v_cmp_gt_i32_e64 s[4:5], v21, v75
	s_and_b64 s[4:5], s[4:5], vcc
	v_cndmask_b32_e64 v5, v22, 0, s[4:5]
	v_lshl_add_u32 v5, v4, 2, v5
.LBB9_71:                               ; =>This Inner Loop Header: Depth=1
	v_readfirstlane_b32 s8, v6
	v_readfirstlane_b32 s9, v7
	;; [unrolled: 1-line block ×4, first 2 shown]
	v_cmp_eq_u64_e32 vcc, s[8:9], v[6:7]
	v_cmp_eq_u64_e64 s[4:5], s[10:11], v[8:9]
	s_and_b64 s[4:5], vcc, s[4:5]
	s_and_saveexec_b64 s[4:5], s[4:5]
	s_nop 0
	buffer_store_dwordx4 v[84:87], v5, s[8:11], 0 offen
                                        ; implicit-def: $vgpr84_vgpr85_vgpr86_vgpr87
                                        ; implicit-def: $vgpr5
	s_xor_b64 exec, exec, s[4:5]
	s_cbranch_execnz .LBB9_71
; %bb.72:
	s_mov_b64 exec, s[6:7]
	flat_load_dword v5, v[48:49] offset:12
	flat_load_dword v20, v[48:49] offset:32
	;; [unrolled: 1-line block ×3, first 2 shown]
	v_bfrev_b32_e32 v22, 1
	s_mov_b64 s[6:7], exec
	s_waitcnt vmcnt(0) lgkmcnt(0)
	v_lshlrev_b32_e32 v5, 6, v5
	v_cmp_gt_i32_e32 vcc, v20, v14
	v_cmp_gt_i32_e64 s[4:5], v21, v75
	v_sub_u32_e32 v4, v4, v5
	s_and_b64 s[4:5], s[4:5], vcc
	v_cndmask_b32_e64 v5, v22, 0, s[4:5]
	v_lshlrev_b32_e32 v20, 2, v4
	v_add_u32_e32 v5, v5, v20
.LBB9_73:                               ; =>This Inner Loop Header: Depth=1
	v_readfirstlane_b32 s8, v6
	v_readfirstlane_b32 s9, v7
	;; [unrolled: 1-line block ×4, first 2 shown]
	v_cmp_eq_u64_e32 vcc, s[8:9], v[6:7]
	v_cmp_eq_u64_e64 s[4:5], s[10:11], v[8:9]
	s_and_b64 s[4:5], vcc, s[4:5]
	s_and_saveexec_b64 s[4:5], s[4:5]
	s_nop 0
	buffer_store_dwordx4 v[34:37], v5, s[8:11], 0 offen
                                        ; implicit-def: $vgpr34_vgpr35_vgpr36_vgpr37
                                        ; implicit-def: $vgpr5
	s_xor_b64 exec, exec, s[4:5]
	s_cbranch_execnz .LBB9_73
; %bb.74:
	s_mov_b64 exec, s[6:7]
	flat_load_dword v21, v[48:49] offset:32
	flat_load_dword v22, v[48:49] offset:20
	flat_load_dword v5, v[48:49] offset:8
	v_bfrev_b32_e32 v23, 1
	s_mov_b64 s[6:7], exec
	s_waitcnt vmcnt(0) lgkmcnt(0)
	v_cmp_gt_i32_e32 vcc, v21, v14
	v_cmp_gt_i32_e64 s[4:5], v22, v43
	s_and_b64 s[4:5], s[4:5], vcc
	v_lshlrev_b32_e32 v21, 8, v5
	v_cndmask_b32_e64 v22, v23, 0, s[4:5]
	v_add3_u32 v20, v21, v20, v22
.LBB9_75:                               ; =>This Inner Loop Header: Depth=1
	v_readfirstlane_b32 s8, v6
	v_readfirstlane_b32 s9, v7
	;; [unrolled: 1-line block ×4, first 2 shown]
	v_cmp_eq_u64_e32 vcc, s[8:9], v[6:7]
	v_cmp_eq_u64_e64 s[4:5], s[10:11], v[8:9]
	s_and_b64 s[4:5], vcc, s[4:5]
	s_and_saveexec_b64 s[4:5], s[4:5]
	s_nop 0
	buffer_store_dwordx4 v[112:115], v20, s[8:11], 0 offen
                                        ; implicit-def: $vgpr112_vgpr113_vgpr114_vgpr115
                                        ; implicit-def: $vgpr20
	s_xor_b64 exec, exec, s[4:5]
	s_cbranch_execnz .LBB9_75
; %bb.76:
	s_mov_b64 exec, s[6:7]
	flat_load_dword v20, v[48:49] offset:12
	flat_load_dword v21, v[48:49] offset:32
	;; [unrolled: 1-line block ×3, first 2 shown]
	v_bfrev_b32_e32 v23, 1
	s_mov_b64 s[6:7], exec
	s_waitcnt vmcnt(0) lgkmcnt(0)
	v_add_u32_e32 v5, v20, v5
	v_cmp_gt_i32_e32 vcc, v21, v15
	v_cmp_gt_i32_e64 s[4:5], v22, v43
	s_and_b64 s[4:5], s[4:5], vcc
	v_lshl_add_u32 v4, v5, 6, v4
	v_cndmask_b32_e64 v5, v23, 0, s[4:5]
	v_lshl_add_u32 v5, v4, 2, v5
.LBB9_77:                               ; =>This Inner Loop Header: Depth=1
	v_readfirstlane_b32 s8, v6
	v_readfirstlane_b32 s9, v7
	;; [unrolled: 1-line block ×4, first 2 shown]
	v_cmp_eq_u64_e32 vcc, s[8:9], v[6:7]
	v_cmp_eq_u64_e64 s[4:5], s[10:11], v[8:9]
	s_and_b64 s[4:5], vcc, s[4:5]
	s_and_saveexec_b64 s[4:5], s[4:5]
	s_nop 0
	buffer_store_dwordx4 v[16:19], v5, s[8:11], 0 offen
                                        ; implicit-def: $vgpr16_vgpr17_vgpr18_vgpr19
                                        ; implicit-def: $vgpr5
	s_xor_b64 exec, exec, s[4:5]
	s_cbranch_execnz .LBB9_77
; %bb.78:
	s_mov_b64 exec, s[6:7]
	flat_load_dword v5, v[48:49] offset:8
	flat_load_dword v16, v[48:49] offset:32
	;; [unrolled: 1-line block ×3, first 2 shown]
	v_bfrev_b32_e32 v18, 1
	s_mov_b64 s[6:7], exec
	s_waitcnt vmcnt(0) lgkmcnt(0)
	v_sub_u32_e32 v4, v4, v5
	v_cmp_gt_i32_e32 vcc, v16, v15
	v_cmp_ge_i32_e64 s[4:5], v17, v43
	s_and_b64 s[4:5], s[4:5], vcc
	v_cndmask_b32_e64 v5, v18, 0, s[4:5]
	v_lshl_add_u32 v5, v4, 2, v5
.LBB9_79:                               ; =>This Inner Loop Header: Depth=1
	v_readfirstlane_b32 s8, v6
	v_readfirstlane_b32 s9, v7
	v_readfirstlane_b32 s10, v8
	v_readfirstlane_b32 s11, v9
	v_cmp_eq_u64_e32 vcc, s[8:9], v[6:7]
	v_cmp_eq_u64_e64 s[4:5], s[10:11], v[8:9]
	s_and_b64 s[4:5], vcc, s[4:5]
	s_and_saveexec_b64 s[4:5], s[4:5]
	s_nop 0
	buffer_store_dwordx4 v[100:103], v5, s[8:11], 0 offen
                                        ; implicit-def: $vgpr100_vgpr101_vgpr102_vgpr103
                                        ; implicit-def: $vgpr5
	s_xor_b64 exec, exec, s[4:5]
	s_cbranch_execnz .LBB9_79
; %bb.80:
	s_mov_b64 exec, s[6:7]
	flat_load_dword v5, v[48:49] offset:12
	flat_load_dword v16, v[48:49] offset:32
	;; [unrolled: 1-line block ×3, first 2 shown]
	v_bfrev_b32_e32 v18, 1
	s_mov_b64 s[6:7], exec
	s_waitcnt vmcnt(0) lgkmcnt(0)
	v_lshlrev_b32_e32 v5, 6, v5
	v_cmp_gt_i32_e32 vcc, v16, v14
	v_cmp_gt_i32_e64 s[4:5], v17, v42
	s_and_b64 s[4:5], s[4:5], vcc
	v_sub_u32_e32 v4, v4, v5
	v_cndmask_b32_e64 v5, v18, 0, s[4:5]
	v_lshl_add_u32 v5, v4, 2, v5
.LBB9_81:                               ; =>This Inner Loop Header: Depth=1
	v_readfirstlane_b32 s8, v6
	v_readfirstlane_b32 s9, v7
	;; [unrolled: 1-line block ×4, first 2 shown]
	v_cmp_eq_u64_e32 vcc, s[8:9], v[6:7]
	v_cmp_eq_u64_e64 s[4:5], s[10:11], v[8:9]
	s_and_b64 s[4:5], vcc, s[4:5]
	s_and_saveexec_b64 s[4:5], s[4:5]
	s_nop 0
	buffer_store_dwordx4 v[96:99], v5, s[8:11], 0 offen
                                        ; implicit-def: $vgpr96_vgpr97_vgpr98_vgpr99
                                        ; implicit-def: $vgpr5
	s_xor_b64 exec, exec, s[4:5]
	s_cbranch_execnz .LBB9_81
; %bb.82:
	s_mov_b64 exec, s[6:7]
	flat_load_dword v5, v[48:49] offset:8
	flat_load_dword v16, v[48:49] offset:32
	;; [unrolled: 1-line block ×3, first 2 shown]
	v_bfrev_b32_e32 v18, 1
	s_mov_b64 s[6:7], exec
	s_waitcnt vmcnt(0) lgkmcnt(0)
	v_sub_u32_e32 v4, v4, v5
	v_cmp_gt_i32_e32 vcc, v16, v14
	v_cmp_ge_i32_e64 s[4:5], v17, v42
	s_and_b64 s[4:5], s[4:5], vcc
	v_cndmask_b32_e64 v5, v18, 0, s[4:5]
	v_lshl_add_u32 v5, v4, 2, v5
.LBB9_83:                               ; =>This Inner Loop Header: Depth=1
	v_readfirstlane_b32 s8, v6
	v_readfirstlane_b32 s9, v7
	;; [unrolled: 1-line block ×4, first 2 shown]
	v_cmp_eq_u64_e32 vcc, s[8:9], v[6:7]
	v_cmp_eq_u64_e64 s[4:5], s[10:11], v[8:9]
	s_and_b64 s[4:5], vcc, s[4:5]
	s_and_saveexec_b64 s[4:5], s[4:5]
	s_nop 0
	buffer_store_dwordx4 v[26:29], v5, s[8:11], 0 offen
                                        ; implicit-def: $vgpr26_vgpr27_vgpr28_vgpr29
                                        ; implicit-def: $vgpr5
	s_xor_b64 exec, exec, s[4:5]
	s_cbranch_execnz .LBB9_83
; %bb.84:
	s_mov_b64 exec, s[6:7]
	flat_load_dword v5, v[48:49] offset:12
	flat_load_dword v16, v[48:49] offset:32
	;; [unrolled: 1-line block ×3, first 2 shown]
	v_bfrev_b32_e32 v18, 1
	s_mov_b64 s[6:7], exec
	s_waitcnt vmcnt(0) lgkmcnt(0)
	v_lshl_add_u32 v4, v5, 6, v4
	v_cmp_gt_i32_e32 vcc, v16, v15
	v_cmp_gt_i32_e64 s[4:5], v17, v46
	s_and_b64 s[4:5], s[4:5], vcc
	v_cndmask_b32_e64 v5, v18, 0, s[4:5]
	v_lshl_add_u32 v5, v4, 2, v5
.LBB9_85:                               ; =>This Inner Loop Header: Depth=1
	v_readfirstlane_b32 s8, v6
	v_readfirstlane_b32 s9, v7
	;; [unrolled: 1-line block ×4, first 2 shown]
	v_cmp_eq_u64_e32 vcc, s[8:9], v[6:7]
	v_cmp_eq_u64_e64 s[4:5], s[10:11], v[8:9]
	s_and_b64 s[4:5], vcc, s[4:5]
	s_and_saveexec_b64 s[4:5], s[4:5]
	s_nop 0
	buffer_store_dwordx4 v[30:33], v5, s[8:11], 0 offen
                                        ; implicit-def: $vgpr30_vgpr31_vgpr32_vgpr33
                                        ; implicit-def: $vgpr5
	s_xor_b64 exec, exec, s[4:5]
	s_cbranch_execnz .LBB9_85
; %bb.86:
	s_mov_b64 exec, s[6:7]
	flat_load_dword v5, v[48:49] offset:8
	flat_load_dword v16, v[48:49] offset:32
	;; [unrolled: 1-line block ×3, first 2 shown]
	v_bfrev_b32_e32 v18, 1
	s_mov_b64 s[6:7], exec
	s_waitcnt vmcnt(0) lgkmcnt(0)
	v_sub_u32_e32 v4, v4, v5
	v_cmp_gt_i32_e32 vcc, v16, v15
	v_cmp_ge_i32_e64 s[4:5], v17, v46
	s_and_b64 s[4:5], s[4:5], vcc
	v_lshlrev_b32_e32 v4, 2, v4
	v_cndmask_b32_e64 v5, v18, 0, s[4:5]
	v_add_u32_e32 v5, v5, v4
.LBB9_87:                               ; =>This Inner Loop Header: Depth=1
	v_readfirstlane_b32 s8, v6
	v_readfirstlane_b32 s9, v7
	;; [unrolled: 1-line block ×4, first 2 shown]
	v_cmp_eq_u64_e32 vcc, s[8:9], v[6:7]
	v_cmp_eq_u64_e64 s[4:5], s[10:11], v[8:9]
	s_and_b64 s[4:5], vcc, s[4:5]
	s_and_saveexec_b64 s[4:5], s[4:5]
	s_nop 0
	buffer_store_dwordx4 v[10:13], v5, s[8:11], 0 offen
                                        ; implicit-def: $vgpr10_vgpr11_vgpr12_vgpr13
                                        ; implicit-def: $vgpr5
	s_xor_b64 exec, exec, s[4:5]
	s_cbranch_execnz .LBB9_87
; %bb.88:
	s_mov_b64 exec, s[6:7]
	flat_load_dword v5, v[48:49] offset:32
	flat_load_dword v10, v[48:49] offset:20
	;; [unrolled: 1-line block ×3, first 2 shown]
	v_bfrev_b32_e32 v12, 1
	s_mov_b64 s[6:7], exec
	s_waitcnt vmcnt(0) lgkmcnt(0)
	v_cmp_gt_i32_e32 vcc, v5, v14
	v_cmp_gt_i32_e64 s[4:5], v10, v39
	v_lshlrev_b32_e32 v5, 8, v11
	s_and_b64 s[4:5], s[4:5], vcc
	v_sub_u32_e32 v4, v4, v5
	v_cndmask_b32_e64 v5, v12, 0, s[4:5]
	v_add_u32_e32 v4, v4, v5
.LBB9_89:                               ; =>This Inner Loop Header: Depth=1
	v_readfirstlane_b32 s8, v6
	v_readfirstlane_b32 s9, v7
	;; [unrolled: 1-line block ×4, first 2 shown]
	v_cmp_eq_u64_e32 vcc, s[8:9], v[6:7]
	v_cmp_eq_u64_e64 s[4:5], s[10:11], v[8:9]
	s_and_b64 s[4:5], vcc, s[4:5]
	s_and_saveexec_b64 s[4:5], s[4:5]
	s_nop 0
	buffer_store_dwordx4 v[0:3], v4, s[8:11], 0 offen
                                        ; implicit-def: $vgpr6_vgpr7_vgpr8_vgpr9
                                        ; implicit-def: $vgpr0_vgpr1_vgpr2_vgpr3
                                        ; implicit-def: $vgpr4
	s_xor_b64 exec, exec, s[4:5]
	s_cbranch_execnz .LBB9_89
; %bb.90:
	s_mov_b64 exec, s[6:7]
	s_waitcnt vmcnt(0)
	s_setpc_b64 s[30:31]
.Lfunc_end9:
	.size	_ZN2ck32GridwiseGemmDlMultipleD_km_kn_mnILi256EffNS_5TupleIJfEEEfNS_16tensor_operation12element_wise11PassThroughES5_NS4_7AddReluELNS_25InMemoryDataOperationEnumE0ENS_16TensorDescriptorINS1_IJNS_5EmbedINS1_IJiiiiEEESA_Lb0EEENS_11PassThroughIiEENS_3PadIiiiLb0EEESF_SD_SD_NS9_INS1_IJiiEEESG_Lb0EEESH_SD_NS_23Merge_v2_magic_divisionINS1_IJiiiEEEEESK_NS_8RightPadIiiLb0EEESM_NS_7UnMergeISG_Lb0EEESD_EEENS1_IJNS_8SequenceIJLi0EEEENSQ_IJLi1EEEENSQ_IJLi2EEEENSQ_IJLi3EEEENSQ_IJLi4EEEENSQ_IJLi5EEEENSQ_IJLi6EEEENSQ_IJLi7EEEENSQ_IJLi8EEEENSQ_IJLi9ELi11ELi13EEEENSQ_IJLi10ELi12ELi14EEEENSQ_IJLi15EEEENSQ_IJLi16EEEENSQ_IJLi18EEEENSQ_IJLi17EEEEEEENS1_IJNSQ_IJLi1ELi2ELi3ELi4EEEESW_SX_SY_SZ_NSQ_IJLi9EEEENSQ_IJLi10ELi11EEEENSQ_IJLi12ELi13EEEENSQ_IJLi14EEEES12_S13_S15_S14_NSQ_IJLi19ELi20EEEENSQ_IJLi21EEEEEEENSQ_IJLi19ELi21ELi20EEEElEENS8_INS1_IJSO_SM_SM_SO_SD_EEENS1_IJSR_SS_ST_SV_SU_EEENS1_IJNSQ_IJLi1ELi2EEEESU_SV_NSQ_IJLi5ELi6EEEESY_EEENSQ_IJLi5ELi7ELi6EEEElEENS8_INS1_IJSH_SM_SM_EEENS1_IJSR_SS_ST_EEENS1_IJS1J_SU_SV_EEENSQ_IJLi3ELi4EEEElEELi128ELi128ELi16ELi1ELi4ELi4ELi1ENSQ_IJLi8ELi2EEEES1T_NSQ_IJLi8ELi1ELi1ELi1EEEENSQ_IJLi2ELi1ELi128ELi1EEEENSQ_IJLi1ELi2ELi0ELi3EEEES1W_NSQ_IJLi4ELi1ELi1ELi1EEEES1W_NSQ_IJLi1ELi1ELi1ELi1EEEES1U_S1V_S1W_S1W_S1X_S1W_S1Y_NSQ_IJLi0ELi1ELi2ELi3ELi4ELi5EEEELi5ELi4EE3RunINS1_IJNS8_INS1_IJSH_SM_SM_NSN_INS1_IJiNS_17integral_constantIiLi2EEENS22_IiLi64EEEEEELb0EEES26_EEENS1_IJSR_SS_ST_SU_SV_EEENS1_IJS1J_SU_SV_NSQ_IJLi5ELi6ELi7EEEENSQ_IJLi8ELi9ELi10EEEEEEENSQ_IJLi5ELi6ELi7ELi8ELi9ELi10EEEElEEEEELb1ELb0ENS_31BlockToCTileMap_M00_N00_M01_N01ILi128ELi128ES1S_Lb0EEEEEvPKfS2I_NS1_IJS2I_EEEPfPvRKS5_S2N_RKS6_RKNS8_INS1_IJSB_SD_SF_SF_SD_SD_SH_SH_SD_SK_SK_SM_SM_SO_SD_SD_NSN_INS1_IJiNS22_IiLi128EEEEEELb0EEENSC_INS22_IiLi1EEEEEEEENS1_IJSR_SS_ST_SU_SV_SW_SX_SY_SZ_S10_S11_S12_S13_S14_S15_NSQ_IJLi19EEEES1D_NSQ_IJLi20EEEEEEENS1_IJS17_SW_SX_SY_SZ_S18_S19_S1A_S1B_S12_S13_S15_S14_S1C_S1D_NSQ_IJLi22EEEENSQ_IJLi23ELi24EEEENSQ_IJLi25EEEEEEENSQ_IJLi22ELi23ELi24ELi25EEEElEERKNS8_INS1_IJSO_SM_SM_SO_SD_SD_S2S_S2U_EEENS1_IJSR_SS_ST_SV_SU_SW_SY_SX_EEENS1_IJS1J_SU_SV_S1K_SY_SZ_NSQ_IJLi9ELi10EEEENSQ_IJLi11EEEEEEENSQ_IJLi8ELi9ELi10ELi11EEEElEERKT_RKS2D_RKT2_NS22_IbXT0_EEENS22_IbXT1_EEE, .Lfunc_end9-_ZN2ck32GridwiseGemmDlMultipleD_km_kn_mnILi256EffNS_5TupleIJfEEEfNS_16tensor_operation12element_wise11PassThroughES5_NS4_7AddReluELNS_25InMemoryDataOperationEnumE0ENS_16TensorDescriptorINS1_IJNS_5EmbedINS1_IJiiiiEEESA_Lb0EEENS_11PassThroughIiEENS_3PadIiiiLb0EEESF_SD_SD_NS9_INS1_IJiiEEESG_Lb0EEESH_SD_NS_23Merge_v2_magic_divisionINS1_IJiiiEEEEESK_NS_8RightPadIiiLb0EEESM_NS_7UnMergeISG_Lb0EEESD_EEENS1_IJNS_8SequenceIJLi0EEEENSQ_IJLi1EEEENSQ_IJLi2EEEENSQ_IJLi3EEEENSQ_IJLi4EEEENSQ_IJLi5EEEENSQ_IJLi6EEEENSQ_IJLi7EEEENSQ_IJLi8EEEENSQ_IJLi9ELi11ELi13EEEENSQ_IJLi10ELi12ELi14EEEENSQ_IJLi15EEEENSQ_IJLi16EEEENSQ_IJLi18EEEENSQ_IJLi17EEEEEEENS1_IJNSQ_IJLi1ELi2ELi3ELi4EEEESW_SX_SY_SZ_NSQ_IJLi9EEEENSQ_IJLi10ELi11EEEENSQ_IJLi12ELi13EEEENSQ_IJLi14EEEES12_S13_S15_S14_NSQ_IJLi19ELi20EEEENSQ_IJLi21EEEEEEENSQ_IJLi19ELi21ELi20EEEElEENS8_INS1_IJSO_SM_SM_SO_SD_EEENS1_IJSR_SS_ST_SV_SU_EEENS1_IJNSQ_IJLi1ELi2EEEESU_SV_NSQ_IJLi5ELi6EEEESY_EEENSQ_IJLi5ELi7ELi6EEEElEENS8_INS1_IJSH_SM_SM_EEENS1_IJSR_SS_ST_EEENS1_IJS1J_SU_SV_EEENSQ_IJLi3ELi4EEEElEELi128ELi128ELi16ELi1ELi4ELi4ELi1ENSQ_IJLi8ELi2EEEES1T_NSQ_IJLi8ELi1ELi1ELi1EEEENSQ_IJLi2ELi1ELi128ELi1EEEENSQ_IJLi1ELi2ELi0ELi3EEEES1W_NSQ_IJLi4ELi1ELi1ELi1EEEES1W_NSQ_IJLi1ELi1ELi1ELi1EEEES1U_S1V_S1W_S1W_S1X_S1W_S1Y_NSQ_IJLi0ELi1ELi2ELi3ELi4ELi5EEEELi5ELi4EE3RunINS1_IJNS8_INS1_IJSH_SM_SM_NSN_INS1_IJiNS_17integral_constantIiLi2EEENS22_IiLi64EEEEEELb0EEES26_EEENS1_IJSR_SS_ST_SU_SV_EEENS1_IJS1J_SU_SV_NSQ_IJLi5ELi6ELi7EEEENSQ_IJLi8ELi9ELi10EEEEEEENSQ_IJLi5ELi6ELi7ELi8ELi9ELi10EEEElEEEEELb1ELb0ENS_31BlockToCTileMap_M00_N00_M01_N01ILi128ELi128ES1S_Lb0EEEEEvPKfS2I_NS1_IJS2I_EEEPfPvRKS5_S2N_RKS6_RKNS8_INS1_IJSB_SD_SF_SF_SD_SD_SH_SH_SD_SK_SK_SM_SM_SO_SD_SD_NSN_INS1_IJiNS22_IiLi128EEEEEELb0EEENSC_INS22_IiLi1EEEEEEEENS1_IJSR_SS_ST_SU_SV_SW_SX_SY_SZ_S10_S11_S12_S13_S14_S15_NSQ_IJLi19EEEES1D_NSQ_IJLi20EEEEEEENS1_IJS17_SW_SX_SY_SZ_S18_S19_S1A_S1B_S12_S13_S15_S14_S1C_S1D_NSQ_IJLi22EEEENSQ_IJLi23ELi24EEEENSQ_IJLi25EEEEEEENSQ_IJLi22ELi23ELi24ELi25EEEElEERKNS8_INS1_IJSO_SM_SM_SO_SD_SD_S2S_S2U_EEENS1_IJSR_SS_ST_SV_SU_SW_SY_SX_EEENS1_IJS1J_SU_SV_S1K_SY_SZ_NSQ_IJLi9ELi10EEEENSQ_IJLi11EEEEEEENSQ_IJLi8ELi9ELi10ELi11EEEElEERKT_RKS2D_RKT2_NS22_IbXT0_EEENS22_IbXT1_EEE
                                        ; -- End function
	.section	.AMDGPU.csdata,"",@progbits
; Function info:
; codeLenInByte = 35640
; NumSgprs: 36
; NumVgprs: 128
; NumAgprs: 14
; TotalNumVgprs: 142
; ScratchSize: 0
; MemoryBound: 0
	.section	.text._ZN2ck16tensor_operation6device12_GLOBAL__N_137kernel_grouped_conv_fwd_dl_multiple_dINS_32GridwiseGemmDlMultipleD_km_kn_mnILi256EffNS_5TupleIJfEEEfNS0_12element_wise11PassThroughES8_NS7_7AddReluELNS_25InMemoryDataOperationEnumE0ENS_16TensorDescriptorINS5_IJNS_5EmbedINS5_IJiiiiEEESD_Lb0EEENS_11PassThroughIiEENS_3PadIiiiLb0EEESI_SG_SG_NSC_INS5_IJiiEEESJ_Lb0EEESK_SG_NS_23Merge_v2_magic_divisionINS5_IJiiiEEEEESN_NS_8RightPadIiiLb0EEESP_NS_7UnMergeISJ_Lb0EEESG_EEENS5_IJNS_8SequenceIJLi0EEEENST_IJLi1EEEENST_IJLi2EEEENST_IJLi3EEEENST_IJLi4EEEENST_IJLi5EEEENST_IJLi6EEEENST_IJLi7EEEENST_IJLi8EEEENST_IJLi9ELi11ELi13EEEENST_IJLi10ELi12ELi14EEEENST_IJLi15EEEENST_IJLi16EEEENST_IJLi18EEEENST_IJLi17EEEEEEENS5_IJNST_IJLi1ELi2ELi3ELi4EEEESZ_S10_S11_S12_NST_IJLi9EEEENST_IJLi10ELi11EEEENST_IJLi12ELi13EEEENST_IJLi14EEEES15_S16_S18_S17_NST_IJLi19ELi20EEEENST_IJLi21EEEEEEENST_IJLi19ELi21ELi20EEEElEENSB_INS5_IJSR_SP_SP_SR_SG_EEENS5_IJSU_SV_SW_SY_SX_EEENS5_IJNST_IJLi1ELi2EEEESX_SY_NST_IJLi5ELi6EEEES11_EEENST_IJLi5ELi7ELi6EEEElEENSB_INS5_IJSK_SP_SP_EEENS5_IJSU_SV_SW_EEENS5_IJS1M_SX_SY_EEENST_IJLi3ELi4EEEElEELi128ELi128ELi16ELi1ELi4ELi4ELi1ENST_IJLi8ELi2EEEES1W_NST_IJLi8ELi1ELi1ELi1EEEENST_IJLi2ELi1ELi128ELi1EEEENST_IJLi1ELi2ELi0ELi3EEEES1Z_NST_IJLi4ELi1ELi1ELi1EEEES1Z_NST_IJLi1ELi1ELi1ELi1EEEES1X_S1Y_S1Z_S1Z_S20_S1Z_S21_NST_IJLi0ELi1ELi2ELi3ELi4ELi5EEEELi5ELi4EEEfNS5_IJPKfEEEfS8_S8_S9_NSB_INS5_IJSE_SG_SI_SI_SG_SG_SK_SK_SG_SN_SN_SP_SP_SR_SG_SG_NSQ_INS5_IJiNS_17integral_constantIiLi128EEEEEELb0EEENSF_INS27_IiLi1EEEEEEEENS5_IJSU_SV_SW_SX_SY_SZ_S10_S11_S12_S13_S14_S15_S16_S17_S18_NST_IJLi19EEEES1G_NST_IJLi20EEEEEEENS5_IJS1A_SZ_S10_S11_S12_S1B_S1C_S1D_S1E_S15_S16_S18_S17_S1F_S1G_NST_IJLi22EEEENST_IJLi23ELi24EEEENST_IJLi25EEEEEEENST_IJLi22ELi23ELi24ELi25EEEElEENSB_INS5_IJSR_SP_SP_SR_SG_SG_S2A_S2C_EEENS5_IJSU_SV_SW_SY_SX_SZ_S11_S10_EEENS5_IJS1M_SX_SY_S1N_S11_S12_NST_IJLi9ELi10EEEENST_IJLi11EEEEEEENST_IJLi8ELi9ELi10ELi11EEEElEENS5_IJNSB_INS5_IJSK_SP_SP_NSQ_INS5_IJiNS27_IiLi2EEENS27_IiLi64EEEEEELb0EEES2X_EEENS5_IJSU_SV_SW_SX_SY_EEENS5_IJS1M_SX_SY_NST_IJLi5ELi6ELi7EEEENST_IJLi8ELi9ELi10EEEEEEENST_IJLi5ELi6ELi7ELi8ELi9ELi10EEEElEEEEES34_NS_31BlockToCTileMap_M00_N00_M01_N01ILi128ELi128ES1V_Lb0EEENS1_30ComputePtrOffsetOfStridedBatchILi1ELi1ELi1EvEELb1ELb0EEEvPKT0_S3C_T1_PT2_T3_T4_T5_iT6_T7_T8_T9_T10_T11_,"axG",@progbits,_ZN2ck16tensor_operation6device12_GLOBAL__N_137kernel_grouped_conv_fwd_dl_multiple_dINS_32GridwiseGemmDlMultipleD_km_kn_mnILi256EffNS_5TupleIJfEEEfNS0_12element_wise11PassThroughES8_NS7_7AddReluELNS_25InMemoryDataOperationEnumE0ENS_16TensorDescriptorINS5_IJNS_5EmbedINS5_IJiiiiEEESD_Lb0EEENS_11PassThroughIiEENS_3PadIiiiLb0EEESI_SG_SG_NSC_INS5_IJiiEEESJ_Lb0EEESK_SG_NS_23Merge_v2_magic_divisionINS5_IJiiiEEEEESN_NS_8RightPadIiiLb0EEESP_NS_7UnMergeISJ_Lb0EEESG_EEENS5_IJNS_8SequenceIJLi0EEEENST_IJLi1EEEENST_IJLi2EEEENST_IJLi3EEEENST_IJLi4EEEENST_IJLi5EEEENST_IJLi6EEEENST_IJLi7EEEENST_IJLi8EEEENST_IJLi9ELi11ELi13EEEENST_IJLi10ELi12ELi14EEEENST_IJLi15EEEENST_IJLi16EEEENST_IJLi18EEEENST_IJLi17EEEEEEENS5_IJNST_IJLi1ELi2ELi3ELi4EEEESZ_S10_S11_S12_NST_IJLi9EEEENST_IJLi10ELi11EEEENST_IJLi12ELi13EEEENST_IJLi14EEEES15_S16_S18_S17_NST_IJLi19ELi20EEEENST_IJLi21EEEEEEENST_IJLi19ELi21ELi20EEEElEENSB_INS5_IJSR_SP_SP_SR_SG_EEENS5_IJSU_SV_SW_SY_SX_EEENS5_IJNST_IJLi1ELi2EEEESX_SY_NST_IJLi5ELi6EEEES11_EEENST_IJLi5ELi7ELi6EEEElEENSB_INS5_IJSK_SP_SP_EEENS5_IJSU_SV_SW_EEENS5_IJS1M_SX_SY_EEENST_IJLi3ELi4EEEElEELi128ELi128ELi16ELi1ELi4ELi4ELi1ENST_IJLi8ELi2EEEES1W_NST_IJLi8ELi1ELi1ELi1EEEENST_IJLi2ELi1ELi128ELi1EEEENST_IJLi1ELi2ELi0ELi3EEEES1Z_NST_IJLi4ELi1ELi1ELi1EEEES1Z_NST_IJLi1ELi1ELi1ELi1EEEES1X_S1Y_S1Z_S1Z_S20_S1Z_S21_NST_IJLi0ELi1ELi2ELi3ELi4ELi5EEEELi5ELi4EEEfNS5_IJPKfEEEfS8_S8_S9_NSB_INS5_IJSE_SG_SI_SI_SG_SG_SK_SK_SG_SN_SN_SP_SP_SR_SG_SG_NSQ_INS5_IJiNS_17integral_constantIiLi128EEEEEELb0EEENSF_INS27_IiLi1EEEEEEEENS5_IJSU_SV_SW_SX_SY_SZ_S10_S11_S12_S13_S14_S15_S16_S17_S18_NST_IJLi19EEEES1G_NST_IJLi20EEEEEEENS5_IJS1A_SZ_S10_S11_S12_S1B_S1C_S1D_S1E_S15_S16_S18_S17_S1F_S1G_NST_IJLi22EEEENST_IJLi23ELi24EEEENST_IJLi25EEEEEEENST_IJLi22ELi23ELi24ELi25EEEElEENSB_INS5_IJSR_SP_SP_SR_SG_SG_S2A_S2C_EEENS5_IJSU_SV_SW_SY_SX_SZ_S11_S10_EEENS5_IJS1M_SX_SY_S1N_S11_S12_NST_IJLi9ELi10EEEENST_IJLi11EEEEEEENST_IJLi8ELi9ELi10ELi11EEEElEENS5_IJNSB_INS5_IJSK_SP_SP_NSQ_INS5_IJiNS27_IiLi2EEENS27_IiLi64EEEEEELb0EEES2X_EEENS5_IJSU_SV_SW_SX_SY_EEENS5_IJS1M_SX_SY_NST_IJLi5ELi6ELi7EEEENST_IJLi8ELi9ELi10EEEEEEENST_IJLi5ELi6ELi7ELi8ELi9ELi10EEEElEEEEES34_NS_31BlockToCTileMap_M00_N00_M01_N01ILi128ELi128ES1V_Lb0EEENS1_30ComputePtrOffsetOfStridedBatchILi1ELi1ELi1EvEELb1ELb0EEEvPKT0_S3C_T1_PT2_T3_T4_T5_iT6_T7_T8_T9_T10_T11_,comdat
	.globl	_ZN2ck16tensor_operation6device12_GLOBAL__N_137kernel_grouped_conv_fwd_dl_multiple_dINS_32GridwiseGemmDlMultipleD_km_kn_mnILi256EffNS_5TupleIJfEEEfNS0_12element_wise11PassThroughES8_NS7_7AddReluELNS_25InMemoryDataOperationEnumE0ENS_16TensorDescriptorINS5_IJNS_5EmbedINS5_IJiiiiEEESD_Lb0EEENS_11PassThroughIiEENS_3PadIiiiLb0EEESI_SG_SG_NSC_INS5_IJiiEEESJ_Lb0EEESK_SG_NS_23Merge_v2_magic_divisionINS5_IJiiiEEEEESN_NS_8RightPadIiiLb0EEESP_NS_7UnMergeISJ_Lb0EEESG_EEENS5_IJNS_8SequenceIJLi0EEEENST_IJLi1EEEENST_IJLi2EEEENST_IJLi3EEEENST_IJLi4EEEENST_IJLi5EEEENST_IJLi6EEEENST_IJLi7EEEENST_IJLi8EEEENST_IJLi9ELi11ELi13EEEENST_IJLi10ELi12ELi14EEEENST_IJLi15EEEENST_IJLi16EEEENST_IJLi18EEEENST_IJLi17EEEEEEENS5_IJNST_IJLi1ELi2ELi3ELi4EEEESZ_S10_S11_S12_NST_IJLi9EEEENST_IJLi10ELi11EEEENST_IJLi12ELi13EEEENST_IJLi14EEEES15_S16_S18_S17_NST_IJLi19ELi20EEEENST_IJLi21EEEEEEENST_IJLi19ELi21ELi20EEEElEENSB_INS5_IJSR_SP_SP_SR_SG_EEENS5_IJSU_SV_SW_SY_SX_EEENS5_IJNST_IJLi1ELi2EEEESX_SY_NST_IJLi5ELi6EEEES11_EEENST_IJLi5ELi7ELi6EEEElEENSB_INS5_IJSK_SP_SP_EEENS5_IJSU_SV_SW_EEENS5_IJS1M_SX_SY_EEENST_IJLi3ELi4EEEElEELi128ELi128ELi16ELi1ELi4ELi4ELi1ENST_IJLi8ELi2EEEES1W_NST_IJLi8ELi1ELi1ELi1EEEENST_IJLi2ELi1ELi128ELi1EEEENST_IJLi1ELi2ELi0ELi3EEEES1Z_NST_IJLi4ELi1ELi1ELi1EEEES1Z_NST_IJLi1ELi1ELi1ELi1EEEES1X_S1Y_S1Z_S1Z_S20_S1Z_S21_NST_IJLi0ELi1ELi2ELi3ELi4ELi5EEEELi5ELi4EEEfNS5_IJPKfEEEfS8_S8_S9_NSB_INS5_IJSE_SG_SI_SI_SG_SG_SK_SK_SG_SN_SN_SP_SP_SR_SG_SG_NSQ_INS5_IJiNS_17integral_constantIiLi128EEEEEELb0EEENSF_INS27_IiLi1EEEEEEEENS5_IJSU_SV_SW_SX_SY_SZ_S10_S11_S12_S13_S14_S15_S16_S17_S18_NST_IJLi19EEEES1G_NST_IJLi20EEEEEEENS5_IJS1A_SZ_S10_S11_S12_S1B_S1C_S1D_S1E_S15_S16_S18_S17_S1F_S1G_NST_IJLi22EEEENST_IJLi23ELi24EEEENST_IJLi25EEEEEEENST_IJLi22ELi23ELi24ELi25EEEElEENSB_INS5_IJSR_SP_SP_SR_SG_SG_S2A_S2C_EEENS5_IJSU_SV_SW_SY_SX_SZ_S11_S10_EEENS5_IJS1M_SX_SY_S1N_S11_S12_NST_IJLi9ELi10EEEENST_IJLi11EEEEEEENST_IJLi8ELi9ELi10ELi11EEEElEENS5_IJNSB_INS5_IJSK_SP_SP_NSQ_INS5_IJiNS27_IiLi2EEENS27_IiLi64EEEEEELb0EEES2X_EEENS5_IJSU_SV_SW_SX_SY_EEENS5_IJS1M_SX_SY_NST_IJLi5ELi6ELi7EEEENST_IJLi8ELi9ELi10EEEEEEENST_IJLi5ELi6ELi7ELi8ELi9ELi10EEEElEEEEES34_NS_31BlockToCTileMap_M00_N00_M01_N01ILi128ELi128ES1V_Lb0EEENS1_30ComputePtrOffsetOfStridedBatchILi1ELi1ELi1EvEELb1ELb0EEEvPKT0_S3C_T1_PT2_T3_T4_T5_iT6_T7_T8_T9_T10_T11_ ; -- Begin function _ZN2ck16tensor_operation6device12_GLOBAL__N_137kernel_grouped_conv_fwd_dl_multiple_dINS_32GridwiseGemmDlMultipleD_km_kn_mnILi256EffNS_5TupleIJfEEEfNS0_12element_wise11PassThroughES8_NS7_7AddReluELNS_25InMemoryDataOperationEnumE0ENS_16TensorDescriptorINS5_IJNS_5EmbedINS5_IJiiiiEEESD_Lb0EEENS_11PassThroughIiEENS_3PadIiiiLb0EEESI_SG_SG_NSC_INS5_IJiiEEESJ_Lb0EEESK_SG_NS_23Merge_v2_magic_divisionINS5_IJiiiEEEEESN_NS_8RightPadIiiLb0EEESP_NS_7UnMergeISJ_Lb0EEESG_EEENS5_IJNS_8SequenceIJLi0EEEENST_IJLi1EEEENST_IJLi2EEEENST_IJLi3EEEENST_IJLi4EEEENST_IJLi5EEEENST_IJLi6EEEENST_IJLi7EEEENST_IJLi8EEEENST_IJLi9ELi11ELi13EEEENST_IJLi10ELi12ELi14EEEENST_IJLi15EEEENST_IJLi16EEEENST_IJLi18EEEENST_IJLi17EEEEEEENS5_IJNST_IJLi1ELi2ELi3ELi4EEEESZ_S10_S11_S12_NST_IJLi9EEEENST_IJLi10ELi11EEEENST_IJLi12ELi13EEEENST_IJLi14EEEES15_S16_S18_S17_NST_IJLi19ELi20EEEENST_IJLi21EEEEEEENST_IJLi19ELi21ELi20EEEElEENSB_INS5_IJSR_SP_SP_SR_SG_EEENS5_IJSU_SV_SW_SY_SX_EEENS5_IJNST_IJLi1ELi2EEEESX_SY_NST_IJLi5ELi6EEEES11_EEENST_IJLi5ELi7ELi6EEEElEENSB_INS5_IJSK_SP_SP_EEENS5_IJSU_SV_SW_EEENS5_IJS1M_SX_SY_EEENST_IJLi3ELi4EEEElEELi128ELi128ELi16ELi1ELi4ELi4ELi1ENST_IJLi8ELi2EEEES1W_NST_IJLi8ELi1ELi1ELi1EEEENST_IJLi2ELi1ELi128ELi1EEEENST_IJLi1ELi2ELi0ELi3EEEES1Z_NST_IJLi4ELi1ELi1ELi1EEEES1Z_NST_IJLi1ELi1ELi1ELi1EEEES1X_S1Y_S1Z_S1Z_S20_S1Z_S21_NST_IJLi0ELi1ELi2ELi3ELi4ELi5EEEELi5ELi4EEEfNS5_IJPKfEEEfS8_S8_S9_NSB_INS5_IJSE_SG_SI_SI_SG_SG_SK_SK_SG_SN_SN_SP_SP_SR_SG_SG_NSQ_INS5_IJiNS_17integral_constantIiLi128EEEEEELb0EEENSF_INS27_IiLi1EEEEEEEENS5_IJSU_SV_SW_SX_SY_SZ_S10_S11_S12_S13_S14_S15_S16_S17_S18_NST_IJLi19EEEES1G_NST_IJLi20EEEEEEENS5_IJS1A_SZ_S10_S11_S12_S1B_S1C_S1D_S1E_S15_S16_S18_S17_S1F_S1G_NST_IJLi22EEEENST_IJLi23ELi24EEEENST_IJLi25EEEEEEENST_IJLi22ELi23ELi24ELi25EEEElEENSB_INS5_IJSR_SP_SP_SR_SG_SG_S2A_S2C_EEENS5_IJSU_SV_SW_SY_SX_SZ_S11_S10_EEENS5_IJS1M_SX_SY_S1N_S11_S12_NST_IJLi9ELi10EEEENST_IJLi11EEEEEEENST_IJLi8ELi9ELi10ELi11EEEElEENS5_IJNSB_INS5_IJSK_SP_SP_NSQ_INS5_IJiNS27_IiLi2EEENS27_IiLi64EEEEEELb0EEES2X_EEENS5_IJSU_SV_SW_SX_SY_EEENS5_IJS1M_SX_SY_NST_IJLi5ELi6ELi7EEEENST_IJLi8ELi9ELi10EEEEEEENST_IJLi5ELi6ELi7ELi8ELi9ELi10EEEElEEEEES34_NS_31BlockToCTileMap_M00_N00_M01_N01ILi128ELi128ES1V_Lb0EEENS1_30ComputePtrOffsetOfStridedBatchILi1ELi1ELi1EvEELb1ELb0EEEvPKT0_S3C_T1_PT2_T3_T4_T5_iT6_T7_T8_T9_T10_T11_
	.p2align	8
	.type	_ZN2ck16tensor_operation6device12_GLOBAL__N_137kernel_grouped_conv_fwd_dl_multiple_dINS_32GridwiseGemmDlMultipleD_km_kn_mnILi256EffNS_5TupleIJfEEEfNS0_12element_wise11PassThroughES8_NS7_7AddReluELNS_25InMemoryDataOperationEnumE0ENS_16TensorDescriptorINS5_IJNS_5EmbedINS5_IJiiiiEEESD_Lb0EEENS_11PassThroughIiEENS_3PadIiiiLb0EEESI_SG_SG_NSC_INS5_IJiiEEESJ_Lb0EEESK_SG_NS_23Merge_v2_magic_divisionINS5_IJiiiEEEEESN_NS_8RightPadIiiLb0EEESP_NS_7UnMergeISJ_Lb0EEESG_EEENS5_IJNS_8SequenceIJLi0EEEENST_IJLi1EEEENST_IJLi2EEEENST_IJLi3EEEENST_IJLi4EEEENST_IJLi5EEEENST_IJLi6EEEENST_IJLi7EEEENST_IJLi8EEEENST_IJLi9ELi11ELi13EEEENST_IJLi10ELi12ELi14EEEENST_IJLi15EEEENST_IJLi16EEEENST_IJLi18EEEENST_IJLi17EEEEEEENS5_IJNST_IJLi1ELi2ELi3ELi4EEEESZ_S10_S11_S12_NST_IJLi9EEEENST_IJLi10ELi11EEEENST_IJLi12ELi13EEEENST_IJLi14EEEES15_S16_S18_S17_NST_IJLi19ELi20EEEENST_IJLi21EEEEEEENST_IJLi19ELi21ELi20EEEElEENSB_INS5_IJSR_SP_SP_SR_SG_EEENS5_IJSU_SV_SW_SY_SX_EEENS5_IJNST_IJLi1ELi2EEEESX_SY_NST_IJLi5ELi6EEEES11_EEENST_IJLi5ELi7ELi6EEEElEENSB_INS5_IJSK_SP_SP_EEENS5_IJSU_SV_SW_EEENS5_IJS1M_SX_SY_EEENST_IJLi3ELi4EEEElEELi128ELi128ELi16ELi1ELi4ELi4ELi1ENST_IJLi8ELi2EEEES1W_NST_IJLi8ELi1ELi1ELi1EEEENST_IJLi2ELi1ELi128ELi1EEEENST_IJLi1ELi2ELi0ELi3EEEES1Z_NST_IJLi4ELi1ELi1ELi1EEEES1Z_NST_IJLi1ELi1ELi1ELi1EEEES1X_S1Y_S1Z_S1Z_S20_S1Z_S21_NST_IJLi0ELi1ELi2ELi3ELi4ELi5EEEELi5ELi4EEEfNS5_IJPKfEEEfS8_S8_S9_NSB_INS5_IJSE_SG_SI_SI_SG_SG_SK_SK_SG_SN_SN_SP_SP_SR_SG_SG_NSQ_INS5_IJiNS_17integral_constantIiLi128EEEEEELb0EEENSF_INS27_IiLi1EEEEEEEENS5_IJSU_SV_SW_SX_SY_SZ_S10_S11_S12_S13_S14_S15_S16_S17_S18_NST_IJLi19EEEES1G_NST_IJLi20EEEEEEENS5_IJS1A_SZ_S10_S11_S12_S1B_S1C_S1D_S1E_S15_S16_S18_S17_S1F_S1G_NST_IJLi22EEEENST_IJLi23ELi24EEEENST_IJLi25EEEEEEENST_IJLi22ELi23ELi24ELi25EEEElEENSB_INS5_IJSR_SP_SP_SR_SG_SG_S2A_S2C_EEENS5_IJSU_SV_SW_SY_SX_SZ_S11_S10_EEENS5_IJS1M_SX_SY_S1N_S11_S12_NST_IJLi9ELi10EEEENST_IJLi11EEEEEEENST_IJLi8ELi9ELi10ELi11EEEElEENS5_IJNSB_INS5_IJSK_SP_SP_NSQ_INS5_IJiNS27_IiLi2EEENS27_IiLi64EEEEEELb0EEES2X_EEENS5_IJSU_SV_SW_SX_SY_EEENS5_IJS1M_SX_SY_NST_IJLi5ELi6ELi7EEEENST_IJLi8ELi9ELi10EEEEEEENST_IJLi5ELi6ELi7ELi8ELi9ELi10EEEElEEEEES34_NS_31BlockToCTileMap_M00_N00_M01_N01ILi128ELi128ES1V_Lb0EEENS1_30ComputePtrOffsetOfStridedBatchILi1ELi1ELi1EvEELb1ELb0EEEvPKT0_S3C_T1_PT2_T3_T4_T5_iT6_T7_T8_T9_T10_T11_,@function
_ZN2ck16tensor_operation6device12_GLOBAL__N_137kernel_grouped_conv_fwd_dl_multiple_dINS_32GridwiseGemmDlMultipleD_km_kn_mnILi256EffNS_5TupleIJfEEEfNS0_12element_wise11PassThroughES8_NS7_7AddReluELNS_25InMemoryDataOperationEnumE0ENS_16TensorDescriptorINS5_IJNS_5EmbedINS5_IJiiiiEEESD_Lb0EEENS_11PassThroughIiEENS_3PadIiiiLb0EEESI_SG_SG_NSC_INS5_IJiiEEESJ_Lb0EEESK_SG_NS_23Merge_v2_magic_divisionINS5_IJiiiEEEEESN_NS_8RightPadIiiLb0EEESP_NS_7UnMergeISJ_Lb0EEESG_EEENS5_IJNS_8SequenceIJLi0EEEENST_IJLi1EEEENST_IJLi2EEEENST_IJLi3EEEENST_IJLi4EEEENST_IJLi5EEEENST_IJLi6EEEENST_IJLi7EEEENST_IJLi8EEEENST_IJLi9ELi11ELi13EEEENST_IJLi10ELi12ELi14EEEENST_IJLi15EEEENST_IJLi16EEEENST_IJLi18EEEENST_IJLi17EEEEEEENS5_IJNST_IJLi1ELi2ELi3ELi4EEEESZ_S10_S11_S12_NST_IJLi9EEEENST_IJLi10ELi11EEEENST_IJLi12ELi13EEEENST_IJLi14EEEES15_S16_S18_S17_NST_IJLi19ELi20EEEENST_IJLi21EEEEEEENST_IJLi19ELi21ELi20EEEElEENSB_INS5_IJSR_SP_SP_SR_SG_EEENS5_IJSU_SV_SW_SY_SX_EEENS5_IJNST_IJLi1ELi2EEEESX_SY_NST_IJLi5ELi6EEEES11_EEENST_IJLi5ELi7ELi6EEEElEENSB_INS5_IJSK_SP_SP_EEENS5_IJSU_SV_SW_EEENS5_IJS1M_SX_SY_EEENST_IJLi3ELi4EEEElEELi128ELi128ELi16ELi1ELi4ELi4ELi1ENST_IJLi8ELi2EEEES1W_NST_IJLi8ELi1ELi1ELi1EEEENST_IJLi2ELi1ELi128ELi1EEEENST_IJLi1ELi2ELi0ELi3EEEES1Z_NST_IJLi4ELi1ELi1ELi1EEEES1Z_NST_IJLi1ELi1ELi1ELi1EEEES1X_S1Y_S1Z_S1Z_S20_S1Z_S21_NST_IJLi0ELi1ELi2ELi3ELi4ELi5EEEELi5ELi4EEEfNS5_IJPKfEEEfS8_S8_S9_NSB_INS5_IJSE_SG_SI_SI_SG_SG_SK_SK_SG_SN_SN_SP_SP_SR_SG_SG_NSQ_INS5_IJiNS_17integral_constantIiLi128EEEEEELb0EEENSF_INS27_IiLi1EEEEEEEENS5_IJSU_SV_SW_SX_SY_SZ_S10_S11_S12_S13_S14_S15_S16_S17_S18_NST_IJLi19EEEES1G_NST_IJLi20EEEEEEENS5_IJS1A_SZ_S10_S11_S12_S1B_S1C_S1D_S1E_S15_S16_S18_S17_S1F_S1G_NST_IJLi22EEEENST_IJLi23ELi24EEEENST_IJLi25EEEEEEENST_IJLi22ELi23ELi24ELi25EEEElEENSB_INS5_IJSR_SP_SP_SR_SG_SG_S2A_S2C_EEENS5_IJSU_SV_SW_SY_SX_SZ_S11_S10_EEENS5_IJS1M_SX_SY_S1N_S11_S12_NST_IJLi9ELi10EEEENST_IJLi11EEEEEEENST_IJLi8ELi9ELi10ELi11EEEElEENS5_IJNSB_INS5_IJSK_SP_SP_NSQ_INS5_IJiNS27_IiLi2EEENS27_IiLi64EEEEEELb0EEES2X_EEENS5_IJSU_SV_SW_SX_SY_EEENS5_IJS1M_SX_SY_NST_IJLi5ELi6ELi7EEEENST_IJLi8ELi9ELi10EEEEEEENST_IJLi5ELi6ELi7ELi8ELi9ELi10EEEElEEEEES34_NS_31BlockToCTileMap_M00_N00_M01_N01ILi128ELi128ES1V_Lb0EEENS1_30ComputePtrOffsetOfStridedBatchILi1ELi1ELi1EvEELb1ELb0EEEvPKT0_S3C_T1_PT2_T3_T4_T5_iT6_T7_T8_T9_T10_T11_: ; @_ZN2ck16tensor_operation6device12_GLOBAL__N_137kernel_grouped_conv_fwd_dl_multiple_dINS_32GridwiseGemmDlMultipleD_km_kn_mnILi256EffNS_5TupleIJfEEEfNS0_12element_wise11PassThroughES8_NS7_7AddReluELNS_25InMemoryDataOperationEnumE0ENS_16TensorDescriptorINS5_IJNS_5EmbedINS5_IJiiiiEEESD_Lb0EEENS_11PassThroughIiEENS_3PadIiiiLb0EEESI_SG_SG_NSC_INS5_IJiiEEESJ_Lb0EEESK_SG_NS_23Merge_v2_magic_divisionINS5_IJiiiEEEEESN_NS_8RightPadIiiLb0EEESP_NS_7UnMergeISJ_Lb0EEESG_EEENS5_IJNS_8SequenceIJLi0EEEENST_IJLi1EEEENST_IJLi2EEEENST_IJLi3EEEENST_IJLi4EEEENST_IJLi5EEEENST_IJLi6EEEENST_IJLi7EEEENST_IJLi8EEEENST_IJLi9ELi11ELi13EEEENST_IJLi10ELi12ELi14EEEENST_IJLi15EEEENST_IJLi16EEEENST_IJLi18EEEENST_IJLi17EEEEEEENS5_IJNST_IJLi1ELi2ELi3ELi4EEEESZ_S10_S11_S12_NST_IJLi9EEEENST_IJLi10ELi11EEEENST_IJLi12ELi13EEEENST_IJLi14EEEES15_S16_S18_S17_NST_IJLi19ELi20EEEENST_IJLi21EEEEEEENST_IJLi19ELi21ELi20EEEElEENSB_INS5_IJSR_SP_SP_SR_SG_EEENS5_IJSU_SV_SW_SY_SX_EEENS5_IJNST_IJLi1ELi2EEEESX_SY_NST_IJLi5ELi6EEEES11_EEENST_IJLi5ELi7ELi6EEEElEENSB_INS5_IJSK_SP_SP_EEENS5_IJSU_SV_SW_EEENS5_IJS1M_SX_SY_EEENST_IJLi3ELi4EEEElEELi128ELi128ELi16ELi1ELi4ELi4ELi1ENST_IJLi8ELi2EEEES1W_NST_IJLi8ELi1ELi1ELi1EEEENST_IJLi2ELi1ELi128ELi1EEEENST_IJLi1ELi2ELi0ELi3EEEES1Z_NST_IJLi4ELi1ELi1ELi1EEEES1Z_NST_IJLi1ELi1ELi1ELi1EEEES1X_S1Y_S1Z_S1Z_S20_S1Z_S21_NST_IJLi0ELi1ELi2ELi3ELi4ELi5EEEELi5ELi4EEEfNS5_IJPKfEEEfS8_S8_S9_NSB_INS5_IJSE_SG_SI_SI_SG_SG_SK_SK_SG_SN_SN_SP_SP_SR_SG_SG_NSQ_INS5_IJiNS_17integral_constantIiLi128EEEEEELb0EEENSF_INS27_IiLi1EEEEEEEENS5_IJSU_SV_SW_SX_SY_SZ_S10_S11_S12_S13_S14_S15_S16_S17_S18_NST_IJLi19EEEES1G_NST_IJLi20EEEEEEENS5_IJS1A_SZ_S10_S11_S12_S1B_S1C_S1D_S1E_S15_S16_S18_S17_S1F_S1G_NST_IJLi22EEEENST_IJLi23ELi24EEEENST_IJLi25EEEEEEENST_IJLi22ELi23ELi24ELi25EEEElEENSB_INS5_IJSR_SP_SP_SR_SG_SG_S2A_S2C_EEENS5_IJSU_SV_SW_SY_SX_SZ_S11_S10_EEENS5_IJS1M_SX_SY_S1N_S11_S12_NST_IJLi9ELi10EEEENST_IJLi11EEEEEEENST_IJLi8ELi9ELi10ELi11EEEElEENS5_IJNSB_INS5_IJSK_SP_SP_NSQ_INS5_IJiNS27_IiLi2EEENS27_IiLi64EEEEEELb0EEES2X_EEENS5_IJSU_SV_SW_SX_SY_EEENS5_IJS1M_SX_SY_NST_IJLi5ELi6ELi7EEEENST_IJLi8ELi9ELi10EEEEEEENST_IJLi5ELi6ELi7ELi8ELi9ELi10EEEElEEEEES34_NS_31BlockToCTileMap_M00_N00_M01_N01ILi128ELi128ES1V_Lb0EEENS1_30ComputePtrOffsetOfStridedBatchILi1ELi1ELi1EvEELb1ELb0EEEvPKT0_S3C_T1_PT2_T3_T4_T5_iT6_T7_T8_T9_T10_T11_
; %bb.0:
	s_add_u32 flat_scratch_lo, s6, s9
	s_mov_b32 s12, s8
	s_load_dwordx8 s[16:23], s[4:5], 0x0
	s_load_dword s8, s[4:5], 0x24
	s_load_dwordx8 s[76:83], s[4:5], 0x28
	s_addc_u32 flat_scratch_hi, s7, 0
	s_add_u32 s0, s0, s9
	s_load_dwordx8 s[24:31], s[4:5], 0x48
	s_load_dwordx8 s[36:43], s[4:5], 0x68
	s_load_dwordx8 s[44:51], s[4:5], 0x88
	s_load_dwordx2 s[10:11], s[4:5], 0x128
	s_load_dwordx8 s[52:59], s[4:5], 0xa8
	s_load_dwordx8 s[60:67], s[4:5], 0xc8
	;; [unrolled: 1-line block ×4, first 2 shown]
	s_addc_u32 s1, s1, 0
	s_waitcnt lgkmcnt(0)
	v_mov_b32_e32 v1, s11
	buffer_store_dword v1, off, s[0:3], 0 offset:260
	v_mov_b32_e32 v1, s10
	buffer_store_dword v1, off, s[0:3], 0 offset:256
	v_mov_b32_e32 v1, s76
	buffer_store_dword v1, off, s[0:3], 0
	v_mov_b32_e32 v1, s77
	buffer_store_dword v1, off, s[0:3], 0 offset:4
	v_mov_b32_e32 v1, s78
	buffer_store_dword v1, off, s[0:3], 0 offset:8
	;; [unrolled: 2-line block ×58, first 2 shown]
	v_mov_b32_e32 v1, s28
	s_load_dwordx8 s[36:43], s[4:5], 0x130
	buffer_store_dword v1, off, s[0:3], 0 offset:48
	v_mov_b32_e32 v1, s27
	buffer_store_dword v1, off, s[0:3], 0 offset:44
	v_mov_b32_e32 v1, s26
	;; [unrolled: 2-line block ×4, first 2 shown]
	buffer_store_dword v1, off, s[0:3], 0 offset:32
	s_waitcnt lgkmcnt(0)
	v_mov_b32_e32 v1, s39
	buffer_store_dword v1, off, s[0:3], 0 offset:276
	v_mov_b32_e32 v1, s38
	buffer_store_dword v1, off, s[0:3], 0 offset:272
	v_mov_b32_e32 v1, s37
	s_load_dwordx8 s[24:31], s[4:5], 0x150
	buffer_store_dword v1, off, s[0:3], 0 offset:268
	v_mov_b32_e32 v1, s36
	buffer_store_dword v1, off, s[0:3], 0 offset:264
	v_mov_b32_e32 v1, s43
	buffer_store_dword v1, off, s[0:3], 0 offset:292
	v_mov_b32_e32 v1, s42
	buffer_store_dword v1, off, s[0:3], 0 offset:288
	v_mov_b32_e32 v1, s41
	buffer_store_dword v1, off, s[0:3], 0 offset:284
	v_mov_b32_e32 v1, s40
	buffer_store_dword v1, off, s[0:3], 0 offset:280
	s_waitcnt lgkmcnt(0)
	v_mov_b32_e32 v1, s27
	buffer_store_dword v1, off, s[0:3], 0 offset:308
	v_mov_b32_e32 v1, s26
	buffer_store_dword v1, off, s[0:3], 0 offset:304
	;; [unrolled: 2-line block ×3, first 2 shown]
	v_mov_b32_e32 v1, s24
	s_load_dwordx8 s[36:43], s[4:5], 0x170
	buffer_store_dword v1, off, s[0:3], 0 offset:296
	v_mov_b32_e32 v1, s31
	buffer_store_dword v1, off, s[0:3], 0 offset:324
	v_mov_b32_e32 v1, s30
	buffer_store_dword v1, off, s[0:3], 0 offset:320
	v_mov_b32_e32 v1, s29
	buffer_store_dword v1, off, s[0:3], 0 offset:316
	v_mov_b32_e32 v1, s28
	buffer_store_dword v1, off, s[0:3], 0 offset:312
	s_waitcnt lgkmcnt(0)
	v_mov_b32_e32 v1, s39
	buffer_store_dword v1, off, s[0:3], 0 offset:340
	v_mov_b32_e32 v1, s38
	buffer_store_dword v1, off, s[0:3], 0 offset:336
	v_mov_b32_e32 v1, s37
	buffer_store_dword v1, off, s[0:3], 0 offset:332
	v_mov_b32_e32 v1, s36
	buffer_store_dword v1, off, s[0:3], 0 offset:328
	v_mov_b32_e32 v1, s43
	buffer_store_dword v1, off, s[0:3], 0 offset:356
	v_mov_b32_e32 v1, s42
	s_load_dwordx8 s[24:31], s[4:5], 0x1d0
	buffer_store_dword v1, off, s[0:3], 0 offset:352
	v_mov_b32_e32 v1, s41
	buffer_store_dword v1, off, s[0:3], 0 offset:348
	v_mov_b32_e32 v1, s40
	buffer_store_dword v1, off, s[0:3], 0 offset:344
	s_load_dwordx8 s[36:43], s[4:5], 0x190
	s_load_dwordx8 s[44:51], s[4:5], 0x1b0
	s_waitcnt lgkmcnt(0)
	v_mov_b32_e32 v1, s27
	buffer_store_dword v1, off, s[0:3], 0 offset:436
	v_mov_b32_e32 v1, s26
	buffer_store_dword v1, off, s[0:3], 0 offset:432
	;; [unrolled: 2-line block ×15, first 2 shown]
	v_mov_b32_e32 v1, s40
	s_load_dwordx8 s[40:47], s[4:5], 0x210
	buffer_store_dword v1, off, s[0:3], 0 offset:376
	v_mov_b32_e32 v1, s39
	buffer_store_dword v1, off, s[0:3], 0 offset:372
	v_mov_b32_e32 v1, s38
	;; [unrolled: 2-line block ×4, first 2 shown]
	buffer_store_dword v1, off, s[0:3], 0 offset:360
	s_waitcnt lgkmcnt(0)
	v_mov_b32_e32 v1, s47
	buffer_store_dword v1, off, s[0:3], 0 offset:516
	v_mov_b32_e32 v1, s46
	buffer_store_dword v1, off, s[0:3], 0 offset:512
	v_mov_b32_e32 v1, s45
	s_load_dwordx8 s[48:55], s[4:5], 0x1f0
	buffer_store_dword v1, off, s[0:3], 0 offset:508
	v_mov_b32_e32 v1, s44
	buffer_store_dword v1, off, s[0:3], 0 offset:504
	v_mov_b32_e32 v1, s43
	;; [unrolled: 2-line block ×5, first 2 shown]
	buffer_store_dword v1, off, s[0:3], 0 offset:488
	s_waitcnt lgkmcnt(0)
	v_mov_b32_e32 v1, s55
	buffer_store_dword v1, off, s[0:3], 0 offset:484
	v_mov_b32_e32 v1, s54
	buffer_store_dword v1, off, s[0:3], 0 offset:480
	v_mov_b32_e32 v1, s53
	buffer_store_dword v1, off, s[0:3], 0 offset:476
	v_mov_b32_e32 v1, s52
	buffer_store_dword v1, off, s[0:3], 0 offset:472
	v_mov_b32_e32 v1, s51
	buffer_store_dword v1, off, s[0:3], 0 offset:468
	v_mov_b32_e32 v1, s50
	buffer_store_dword v1, off, s[0:3], 0 offset:464
	v_mov_b32_e32 v1, s49
	s_mov_b64 s[6:7], src_private_base
	buffer_store_dword v1, off, s[0:3], 0 offset:460
	v_mov_b32_e32 v1, s48
	buffer_store_dword v1, off, s[0:3], 0 offset:456
	v_mov_b32_e32 v1, s31
	s_abs_i32 s6, s8
	buffer_store_dword v1, off, s[0:3], 0 offset:452
	v_mov_b32_e32 v1, s30
	s_load_dwordx4 s[52:55], s[4:5], 0x290
	v_cvt_f32_u32_e32 v2, s6
	buffer_store_dword v1, off, s[0:3], 0 offset:448
	v_mov_b32_e32 v1, s29
	buffer_store_dword v1, off, s[0:3], 0 offset:444
	v_mov_b32_e32 v1, s28
	buffer_store_dword v1, off, s[0:3], 0 offset:440
	s_load_dwordx8 s[24:31], s[4:5], 0x230
	s_load_dwordx8 s[36:43], s[4:5], 0x250
	;; [unrolled: 1-line block ×3, first 2 shown]
	s_load_dword s9, s[4:5], 0x2c8
	v_rcp_iflag_f32_e32 v2, v2
	s_waitcnt lgkmcnt(0)
	v_mov_b32_e32 v1, s55
	buffer_store_dword v1, off, s[0:3], 0 offset:628
	v_mov_b32_e32 v1, s54
	buffer_store_dword v1, off, s[0:3], 0 offset:624
	;; [unrolled: 2-line block ×3, first 2 shown]
	v_mov_b32_e32 v1, s52
	v_mul_f32_e32 v2, 0x4f7ffffe, v2
	buffer_store_dword v1, off, s[0:3], 0 offset:616
	v_mov_b32_e32 v1, s51
	v_cvt_u32_f32_e32 v2, v2
	buffer_store_dword v1, off, s[0:3], 0 offset:612
	v_mov_b32_e32 v1, s50
	buffer_store_dword v1, off, s[0:3], 0 offset:608
	v_mov_b32_e32 v1, s49
	;; [unrolled: 2-line block ×4, first 2 shown]
	s_sub_i32 s10, 0, s6
	v_readfirstlane_b32 s11, v2
	buffer_store_dword v1, off, s[0:3], 0 offset:596
	v_mov_b32_e32 v1, s46
	s_mul_i32 s10, s10, s11
	buffer_store_dword v1, off, s[0:3], 0 offset:592
	v_mov_b32_e32 v1, s45
	s_mul_hi_u32 s10, s11, s10
	buffer_store_dword v1, off, s[0:3], 0 offset:588
	v_mov_b32_e32 v1, s44
	s_xor_b32 s8, s9, s8
	s_abs_i32 s9, s9
	s_add_i32 s11, s11, s10
	buffer_store_dword v1, off, s[0:3], 0 offset:584
	v_mov_b32_e32 v1, s43
	s_mul_hi_u32 s10, s9, s11
	buffer_store_dword v1, off, s[0:3], 0 offset:580
	v_mov_b32_e32 v1, s42
	s_mul_i32 s11, s10, s6
	buffer_store_dword v1, off, s[0:3], 0 offset:576
	v_mov_b32_e32 v1, s41
	s_sub_i32 s9, s9, s11
	buffer_store_dword v1, off, s[0:3], 0 offset:572
	v_mov_b32_e32 v1, s40
	s_ashr_i32 s8, s8, 31
	s_add_i32 s11, s10, 1
	s_sub_i32 s13, s9, s6
	buffer_store_dword v1, off, s[0:3], 0 offset:568
	v_mov_b32_e32 v1, s39
	s_cmp_ge_u32 s9, s6
	buffer_store_dword v1, off, s[0:3], 0 offset:564
	v_mov_b32_e32 v1, s38
	s_cselect_b32 s10, s11, s10
	buffer_store_dword v1, off, s[0:3], 0 offset:560
	v_mov_b32_e32 v1, s37
	s_cselect_b32 s9, s13, s9
	s_add_i32 s11, s10, 1
	buffer_store_dword v1, off, s[0:3], 0 offset:556
	v_mov_b32_e32 v1, s36
	s_cmp_ge_u32 s9, s6
	buffer_store_dword v1, off, s[0:3], 0 offset:552
	v_mov_b32_e32 v1, s31
	s_cselect_b32 s6, s11, s10
	buffer_store_dword v1, off, s[0:3], 0 offset:548
	v_mov_b32_e32 v1, s30
	s_xor_b32 s6, s6, s8
	buffer_store_dword v1, off, s[0:3], 0 offset:544
	v_mov_b32_e32 v1, s29
	s_sub_i32 s6, s6, s8
	buffer_store_dword v1, off, s[0:3], 0 offset:540
	v_mov_b32_e32 v1, s28
	s_abs_i32 s8, s6
	buffer_store_dword v1, off, s[0:3], 0 offset:536
	v_mov_b32_e32 v1, s27
	v_cvt_f32_u32_e32 v2, s8
	buffer_store_dword v1, off, s[0:3], 0 offset:532
	v_mov_b32_e32 v1, s26
	buffer_store_dword v1, off, s[0:3], 0 offset:528
	v_mov_b32_e32 v1, s25
	;; [unrolled: 2-line block ×3, first 2 shown]
	buffer_store_dword v1, off, s[0:3], 0 offset:520
	v_rcp_iflag_f32_e32 v1, v2
	s_sub_i32 s11, 0, s8
	s_abs_i32 s10, s12
	s_xor_b32 s6, s12, s6
	v_mul_f32_e32 v1, 0x4f7ffffe, v1
	v_cvt_u32_f32_e32 v1, v1
	s_ashr_i32 s6, s6, 31
	s_load_dwordx8 s[24:31], s[4:5], 0x2a0
	s_mov_b32 s9, 0
	v_readfirstlane_b32 s13, v1
	s_mul_i32 s11, s11, s13
	s_mul_hi_u32 s11, s13, s11
	s_add_i32 s13, s13, s11
	s_mul_hi_u32 s11, s10, s13
	s_mul_i32 s13, s11, s8
	s_sub_i32 s10, s10, s13
	s_add_i32 s13, s11, 1
	s_sub_i32 s14, s10, s8
	s_cmp_ge_u32 s10, s8
	s_cselect_b32 s11, s13, s11
	s_cselect_b32 s10, s14, s10
	s_add_i32 s13, s11, 1
	s_cmp_ge_u32 s10, s8
	s_cselect_b32 s8, s13, s11
	s_xor_b32 s8, s8, s6
	s_sub_i32 s6, s8, s6
	s_ashr_i32 s13, s6, 31
	s_waitcnt lgkmcnt(0)
	s_mul_i32 s8, s24, s13
	s_mul_hi_u32 s10, s24, s6
	s_add_i32 s8, s10, s8
	s_mul_i32 s10, s25, s6
	s_add_i32 s33, s8, s10
	s_mul_i32 s8, s24, s6
	s_mul_i32 s10, s26, s13
	s_mul_i32 s14, s30, s13
	s_mul_i32 s13, s28, s13
	s_mul_hi_u32 s24, s28, s6
	s_mul_hi_u32 s11, s26, s6
	;; [unrolled: 1-line block ×3, first 2 shown]
	s_add_i32 s13, s24, s13
	s_mul_i32 s24, s29, s6
	s_add_i32 s10, s11, s10
	s_mul_i32 s11, s27, s6
	;; [unrolled: 2-line block ×5, first 2 shown]
	s_add_i32 s26, s14, s15
	s_lshl_b64 s[24:25], s[24:25], 2
	s_mul_i32 s14, s30, s6
	s_add_u32 s6, s20, s24
	s_addc_u32 s13, s21, s25
	s_lshl_b32 s21, s33, 2
	s_mov_b32 s20, s9
	s_lshl_b64 s[24:25], s[8:9], 2
	s_or_b64 s[20:21], s[20:21], s[24:25]
	s_mov_b32 s11, s9
	s_add_u32 s20, s16, s20
	s_addc_u32 s21, s17, s21
	s_lshl_b32 s17, s27, 2
	s_mov_b32 s16, s9
	s_lshl_b64 s[10:11], s[10:11], 2
	s_or_b64 s[10:11], s[16:17], s[10:11]
	s_mov_b32 s15, s9
	s_add_u32 s16, s18, s10
	s_addc_u32 s17, s19, s11
	s_lshl_b32 s11, s26, 2
	s_mov_b32 s10, s9
	s_lshl_b64 s[8:9], s[14:15], 2
	s_or_b64 s[8:9], s[10:11], s[8:9]
	s_add_u32 s10, s22, s8
	s_addc_u32 s11, s23, s9
	s_add_u32 s8, s4, 0x2c8
	s_addc_u32 s9, s5, 0
	v_mov_b32_e32 v31, v0
	v_mov_b32_e32 v0, s20
	v_mov_b32_e32 v1, s21
	v_mov_b32_e32 v2, s16
	v_mov_b32_e32 v3, s17
	v_mov_b32_e32 v4, s6
	v_mov_b32_e32 v5, s13
	v_mov_b32_e32 v6, s10
	v_mov_b32_e32 v7, s11
	v_mov_b32_e32 v8, 0
	v_mov_b32_e32 v9, s7
	v_mov_b32_e32 v10, 0x108
	v_mov_b32_e32 v11, s7
	v_mov_b32_e32 v12, 0x168
	v_mov_b32_e32 v13, s7
	v_mov_b32_e32 v14, 0x1b8
	v_mov_b32_e32 v15, s7
	v_mov_b32_e32 v16, 0x208
	v_mov_b32_e32 v17, s7
	s_mov_b32 s32, 0xa000
	s_getpc_b64 s[4:5]
	s_add_u32 s4, s4, _ZN2ck32GridwiseGemmDlMultipleD_km_kn_mnILi256EffNS_5TupleIJfEEEfNS_16tensor_operation12element_wise11PassThroughES5_NS4_7AddReluELNS_25InMemoryDataOperationEnumE0ENS_16TensorDescriptorINS1_IJNS_5EmbedINS1_IJiiiiEEESA_Lb0EEENS_11PassThroughIiEENS_3PadIiiiLb0EEESF_SD_SD_NS9_INS1_IJiiEEESG_Lb0EEESH_SD_NS_23Merge_v2_magic_divisionINS1_IJiiiEEEEESK_NS_8RightPadIiiLb0EEESM_NS_7UnMergeISG_Lb0EEESD_EEENS1_IJNS_8SequenceIJLi0EEEENSQ_IJLi1EEEENSQ_IJLi2EEEENSQ_IJLi3EEEENSQ_IJLi4EEEENSQ_IJLi5EEEENSQ_IJLi6EEEENSQ_IJLi7EEEENSQ_IJLi8EEEENSQ_IJLi9ELi11ELi13EEEENSQ_IJLi10ELi12ELi14EEEENSQ_IJLi15EEEENSQ_IJLi16EEEENSQ_IJLi18EEEENSQ_IJLi17EEEEEEENS1_IJNSQ_IJLi1ELi2ELi3ELi4EEEESW_SX_SY_SZ_NSQ_IJLi9EEEENSQ_IJLi10ELi11EEEENSQ_IJLi12ELi13EEEENSQ_IJLi14EEEES12_S13_S15_S14_NSQ_IJLi19ELi20EEEENSQ_IJLi21EEEEEEENSQ_IJLi19ELi21ELi20EEEElEENS8_INS1_IJSO_SM_SM_SO_SD_EEENS1_IJSR_SS_ST_SV_SU_EEENS1_IJNSQ_IJLi1ELi2EEEESU_SV_NSQ_IJLi5ELi6EEEESY_EEENSQ_IJLi5ELi7ELi6EEEElEENS8_INS1_IJSH_SM_SM_EEENS1_IJSR_SS_ST_EEENS1_IJS1J_SU_SV_EEENSQ_IJLi3ELi4EEEElEELi128ELi128ELi16ELi1ELi4ELi4ELi1ENSQ_IJLi8ELi2EEEES1T_NSQ_IJLi8ELi1ELi1ELi1EEEENSQ_IJLi2ELi1ELi128ELi1EEEENSQ_IJLi1ELi2ELi0ELi3EEEES1W_NSQ_IJLi4ELi1ELi1ELi1EEEES1W_NSQ_IJLi1ELi1ELi1ELi1EEEES1U_S1V_S1W_S1W_S1X_S1W_S1Y_NSQ_IJLi0ELi1ELi2ELi3ELi4ELi5EEEELi5ELi4EE3RunINS1_IJNS8_INS1_IJSH_SM_SM_NSN_INS1_IJiNS_17integral_constantIiLi2EEENS22_IiLi64EEEEEELb0EEES26_EEENS1_IJSR_SS_ST_SU_SV_EEENS1_IJS1J_SU_SV_NSQ_IJLi5ELi6ELi7EEEENSQ_IJLi8ELi9ELi10EEEEEEENSQ_IJLi5ELi6ELi7ELi8ELi9ELi10EEEElEEEEELb1ELb0ENS_31BlockToCTileMap_M00_N00_M01_N01ILi128ELi128ES1S_Lb0EEEEEvPKfS2I_NS1_IJS2I_EEEPfPvRKS5_S2N_RKS6_RKNS8_INS1_IJSB_SD_SF_SF_SD_SD_SH_SH_SD_SK_SK_SM_SM_SO_SD_SD_NSN_INS1_IJiNS22_IiLi128EEEEEELb0EEENSC_INS22_IiLi1EEEEEEEENS1_IJSR_SS_ST_SU_SV_SW_SX_SY_SZ_S10_S11_S12_S13_S14_S15_NSQ_IJLi19EEEES1D_NSQ_IJLi20EEEEEEENS1_IJS17_SW_SX_SY_SZ_S18_S19_S1A_S1B_S12_S13_S15_S14_S1C_S1D_NSQ_IJLi22EEEENSQ_IJLi23ELi24EEEENSQ_IJLi25EEEEEEENSQ_IJLi22ELi23ELi24ELi25EEEElEERKNS8_INS1_IJSO_SM_SM_SO_SD_SD_S2S_S2U_EEENS1_IJSR_SS_ST_SV_SU_SW_SY_SX_EEENS1_IJS1J_SU_SV_S1K_SY_SZ_NSQ_IJLi9ELi10EEEENSQ_IJLi11EEEEEEENSQ_IJLi8ELi9ELi10ELi11EEEElEERKT_RKS2D_RKT2_NS22_IbXT0_EEENS22_IbXT1_EEE@rel32@lo+4
	s_addc_u32 s5, s5, _ZN2ck32GridwiseGemmDlMultipleD_km_kn_mnILi256EffNS_5TupleIJfEEEfNS_16tensor_operation12element_wise11PassThroughES5_NS4_7AddReluELNS_25InMemoryDataOperationEnumE0ENS_16TensorDescriptorINS1_IJNS_5EmbedINS1_IJiiiiEEESA_Lb0EEENS_11PassThroughIiEENS_3PadIiiiLb0EEESF_SD_SD_NS9_INS1_IJiiEEESG_Lb0EEESH_SD_NS_23Merge_v2_magic_divisionINS1_IJiiiEEEEESK_NS_8RightPadIiiLb0EEESM_NS_7UnMergeISG_Lb0EEESD_EEENS1_IJNS_8SequenceIJLi0EEEENSQ_IJLi1EEEENSQ_IJLi2EEEENSQ_IJLi3EEEENSQ_IJLi4EEEENSQ_IJLi5EEEENSQ_IJLi6EEEENSQ_IJLi7EEEENSQ_IJLi8EEEENSQ_IJLi9ELi11ELi13EEEENSQ_IJLi10ELi12ELi14EEEENSQ_IJLi15EEEENSQ_IJLi16EEEENSQ_IJLi18EEEENSQ_IJLi17EEEEEEENS1_IJNSQ_IJLi1ELi2ELi3ELi4EEEESW_SX_SY_SZ_NSQ_IJLi9EEEENSQ_IJLi10ELi11EEEENSQ_IJLi12ELi13EEEENSQ_IJLi14EEEES12_S13_S15_S14_NSQ_IJLi19ELi20EEEENSQ_IJLi21EEEEEEENSQ_IJLi19ELi21ELi20EEEElEENS8_INS1_IJSO_SM_SM_SO_SD_EEENS1_IJSR_SS_ST_SV_SU_EEENS1_IJNSQ_IJLi1ELi2EEEESU_SV_NSQ_IJLi5ELi6EEEESY_EEENSQ_IJLi5ELi7ELi6EEEElEENS8_INS1_IJSH_SM_SM_EEENS1_IJSR_SS_ST_EEENS1_IJS1J_SU_SV_EEENSQ_IJLi3ELi4EEEElEELi128ELi128ELi16ELi1ELi4ELi4ELi1ENSQ_IJLi8ELi2EEEES1T_NSQ_IJLi8ELi1ELi1ELi1EEEENSQ_IJLi2ELi1ELi128ELi1EEEENSQ_IJLi1ELi2ELi0ELi3EEEES1W_NSQ_IJLi4ELi1ELi1ELi1EEEES1W_NSQ_IJLi1ELi1ELi1ELi1EEEES1U_S1V_S1W_S1W_S1X_S1W_S1Y_NSQ_IJLi0ELi1ELi2ELi3ELi4ELi5EEEELi5ELi4EE3RunINS1_IJNS8_INS1_IJSH_SM_SM_NSN_INS1_IJiNS_17integral_constantIiLi2EEENS22_IiLi64EEEEEELb0EEES26_EEENS1_IJSR_SS_ST_SU_SV_EEENS1_IJS1J_SU_SV_NSQ_IJLi5ELi6ELi7EEEENSQ_IJLi8ELi9ELi10EEEEEEENSQ_IJLi5ELi6ELi7ELi8ELi9ELi10EEEElEEEEELb1ELb0ENS_31BlockToCTileMap_M00_N00_M01_N01ILi128ELi128ES1S_Lb0EEEEEvPKfS2I_NS1_IJS2I_EEEPfPvRKS5_S2N_RKS6_RKNS8_INS1_IJSB_SD_SF_SF_SD_SD_SH_SH_SD_SK_SK_SM_SM_SO_SD_SD_NSN_INS1_IJiNS22_IiLi128EEEEEELb0EEENSC_INS22_IiLi1EEEEEEEENS1_IJSR_SS_ST_SU_SV_SW_SX_SY_SZ_S10_S11_S12_S13_S14_S15_NSQ_IJLi19EEEES1D_NSQ_IJLi20EEEEEEENS1_IJS17_SW_SX_SY_SZ_S18_S19_S1A_S1B_S12_S13_S15_S14_S1C_S1D_NSQ_IJLi22EEEENSQ_IJLi23ELi24EEEENSQ_IJLi25EEEEEEENSQ_IJLi22ELi23ELi24ELi25EEEElEERKNS8_INS1_IJSO_SM_SM_SO_SD_SD_S2S_S2U_EEENS1_IJSR_SS_ST_SV_SU_SW_SY_SX_EEENS1_IJS1J_SU_SV_S1K_SY_SZ_NSQ_IJLi9ELi10EEEENSQ_IJLi11EEEEEEENSQ_IJLi8ELi9ELi10ELi11EEEElEERKT_RKS2D_RKT2_NS22_IbXT0_EEENS22_IbXT1_EEE@rel32@hi+12
	s_swappc_b64 s[30:31], s[4:5]
	s_endpgm
	.section	.rodata,"a",@progbits
	.p2align	6, 0x0
	.amdhsa_kernel _ZN2ck16tensor_operation6device12_GLOBAL__N_137kernel_grouped_conv_fwd_dl_multiple_dINS_32GridwiseGemmDlMultipleD_km_kn_mnILi256EffNS_5TupleIJfEEEfNS0_12element_wise11PassThroughES8_NS7_7AddReluELNS_25InMemoryDataOperationEnumE0ENS_16TensorDescriptorINS5_IJNS_5EmbedINS5_IJiiiiEEESD_Lb0EEENS_11PassThroughIiEENS_3PadIiiiLb0EEESI_SG_SG_NSC_INS5_IJiiEEESJ_Lb0EEESK_SG_NS_23Merge_v2_magic_divisionINS5_IJiiiEEEEESN_NS_8RightPadIiiLb0EEESP_NS_7UnMergeISJ_Lb0EEESG_EEENS5_IJNS_8SequenceIJLi0EEEENST_IJLi1EEEENST_IJLi2EEEENST_IJLi3EEEENST_IJLi4EEEENST_IJLi5EEEENST_IJLi6EEEENST_IJLi7EEEENST_IJLi8EEEENST_IJLi9ELi11ELi13EEEENST_IJLi10ELi12ELi14EEEENST_IJLi15EEEENST_IJLi16EEEENST_IJLi18EEEENST_IJLi17EEEEEEENS5_IJNST_IJLi1ELi2ELi3ELi4EEEESZ_S10_S11_S12_NST_IJLi9EEEENST_IJLi10ELi11EEEENST_IJLi12ELi13EEEENST_IJLi14EEEES15_S16_S18_S17_NST_IJLi19ELi20EEEENST_IJLi21EEEEEEENST_IJLi19ELi21ELi20EEEElEENSB_INS5_IJSR_SP_SP_SR_SG_EEENS5_IJSU_SV_SW_SY_SX_EEENS5_IJNST_IJLi1ELi2EEEESX_SY_NST_IJLi5ELi6EEEES11_EEENST_IJLi5ELi7ELi6EEEElEENSB_INS5_IJSK_SP_SP_EEENS5_IJSU_SV_SW_EEENS5_IJS1M_SX_SY_EEENST_IJLi3ELi4EEEElEELi128ELi128ELi16ELi1ELi4ELi4ELi1ENST_IJLi8ELi2EEEES1W_NST_IJLi8ELi1ELi1ELi1EEEENST_IJLi2ELi1ELi128ELi1EEEENST_IJLi1ELi2ELi0ELi3EEEES1Z_NST_IJLi4ELi1ELi1ELi1EEEES1Z_NST_IJLi1ELi1ELi1ELi1EEEES1X_S1Y_S1Z_S1Z_S20_S1Z_S21_NST_IJLi0ELi1ELi2ELi3ELi4ELi5EEEELi5ELi4EEEfNS5_IJPKfEEEfS8_S8_S9_NSB_INS5_IJSE_SG_SI_SI_SG_SG_SK_SK_SG_SN_SN_SP_SP_SR_SG_SG_NSQ_INS5_IJiNS_17integral_constantIiLi128EEEEEELb0EEENSF_INS27_IiLi1EEEEEEEENS5_IJSU_SV_SW_SX_SY_SZ_S10_S11_S12_S13_S14_S15_S16_S17_S18_NST_IJLi19EEEES1G_NST_IJLi20EEEEEEENS5_IJS1A_SZ_S10_S11_S12_S1B_S1C_S1D_S1E_S15_S16_S18_S17_S1F_S1G_NST_IJLi22EEEENST_IJLi23ELi24EEEENST_IJLi25EEEEEEENST_IJLi22ELi23ELi24ELi25EEEElEENSB_INS5_IJSR_SP_SP_SR_SG_SG_S2A_S2C_EEENS5_IJSU_SV_SW_SY_SX_SZ_S11_S10_EEENS5_IJS1M_SX_SY_S1N_S11_S12_NST_IJLi9ELi10EEEENST_IJLi11EEEEEEENST_IJLi8ELi9ELi10ELi11EEEElEENS5_IJNSB_INS5_IJSK_SP_SP_NSQ_INS5_IJiNS27_IiLi2EEENS27_IiLi64EEEEEELb0EEES2X_EEENS5_IJSU_SV_SW_SX_SY_EEENS5_IJS1M_SX_SY_NST_IJLi5ELi6ELi7EEEENST_IJLi8ELi9ELi10EEEEEEENST_IJLi5ELi6ELi7ELi8ELi9ELi10EEEElEEEEES34_NS_31BlockToCTileMap_M00_N00_M01_N01ILi128ELi128ES1V_Lb0EEENS1_30ComputePtrOffsetOfStridedBatchILi1ELi1ELi1EvEELb1ELb0EEEvPKT0_S3C_T1_PT2_T3_T4_T5_iT6_T7_T8_T9_T10_T11_
		.amdhsa_group_segment_fixed_size 32768
		.amdhsa_private_segment_fixed_size 640
		.amdhsa_kernarg_size 968
		.amdhsa_user_sgpr_count 8
		.amdhsa_user_sgpr_private_segment_buffer 1
		.amdhsa_user_sgpr_dispatch_ptr 0
		.amdhsa_user_sgpr_queue_ptr 0
		.amdhsa_user_sgpr_kernarg_segment_ptr 1
		.amdhsa_user_sgpr_dispatch_id 0
		.amdhsa_user_sgpr_flat_scratch_init 1
		.amdhsa_user_sgpr_kernarg_preload_length 0
		.amdhsa_user_sgpr_kernarg_preload_offset 0
		.amdhsa_user_sgpr_private_segment_size 0
		.amdhsa_uses_dynamic_stack 0
		.amdhsa_system_sgpr_private_segment_wavefront_offset 1
		.amdhsa_system_sgpr_workgroup_id_x 1
		.amdhsa_system_sgpr_workgroup_id_y 0
		.amdhsa_system_sgpr_workgroup_id_z 0
		.amdhsa_system_sgpr_workgroup_info 0
		.amdhsa_system_vgpr_workitem_id 0
		.amdhsa_next_free_vgpr 142
		.amdhsa_next_free_sgpr 92
		.amdhsa_accum_offset 128
		.amdhsa_reserve_vcc 1
		.amdhsa_reserve_flat_scratch 1
		.amdhsa_float_round_mode_32 0
		.amdhsa_float_round_mode_16_64 0
		.amdhsa_float_denorm_mode_32 3
		.amdhsa_float_denorm_mode_16_64 3
		.amdhsa_dx10_clamp 1
		.amdhsa_ieee_mode 1
		.amdhsa_fp16_overflow 0
		.amdhsa_tg_split 0
		.amdhsa_exception_fp_ieee_invalid_op 0
		.amdhsa_exception_fp_denorm_src 0
		.amdhsa_exception_fp_ieee_div_zero 0
		.amdhsa_exception_fp_ieee_overflow 0
		.amdhsa_exception_fp_ieee_underflow 0
		.amdhsa_exception_fp_ieee_inexact 0
		.amdhsa_exception_int_div_zero 0
	.end_amdhsa_kernel
	.section	.text._ZN2ck16tensor_operation6device12_GLOBAL__N_137kernel_grouped_conv_fwd_dl_multiple_dINS_32GridwiseGemmDlMultipleD_km_kn_mnILi256EffNS_5TupleIJfEEEfNS0_12element_wise11PassThroughES8_NS7_7AddReluELNS_25InMemoryDataOperationEnumE0ENS_16TensorDescriptorINS5_IJNS_5EmbedINS5_IJiiiiEEESD_Lb0EEENS_11PassThroughIiEENS_3PadIiiiLb0EEESI_SG_SG_NSC_INS5_IJiiEEESJ_Lb0EEESK_SG_NS_23Merge_v2_magic_divisionINS5_IJiiiEEEEESN_NS_8RightPadIiiLb0EEESP_NS_7UnMergeISJ_Lb0EEESG_EEENS5_IJNS_8SequenceIJLi0EEEENST_IJLi1EEEENST_IJLi2EEEENST_IJLi3EEEENST_IJLi4EEEENST_IJLi5EEEENST_IJLi6EEEENST_IJLi7EEEENST_IJLi8EEEENST_IJLi9ELi11ELi13EEEENST_IJLi10ELi12ELi14EEEENST_IJLi15EEEENST_IJLi16EEEENST_IJLi18EEEENST_IJLi17EEEEEEENS5_IJNST_IJLi1ELi2ELi3ELi4EEEESZ_S10_S11_S12_NST_IJLi9EEEENST_IJLi10ELi11EEEENST_IJLi12ELi13EEEENST_IJLi14EEEES15_S16_S18_S17_NST_IJLi19ELi20EEEENST_IJLi21EEEEEEENST_IJLi19ELi21ELi20EEEElEENSB_INS5_IJSR_SP_SP_SR_SG_EEENS5_IJSU_SV_SW_SY_SX_EEENS5_IJNST_IJLi1ELi2EEEESX_SY_NST_IJLi5ELi6EEEES11_EEENST_IJLi5ELi7ELi6EEEElEENSB_INS5_IJSK_SP_SP_EEENS5_IJSU_SV_SW_EEENS5_IJS1M_SX_SY_EEENST_IJLi3ELi4EEEElEELi128ELi128ELi16ELi1ELi4ELi4ELi1ENST_IJLi8ELi2EEEES1W_NST_IJLi8ELi1ELi1ELi1EEEENST_IJLi2ELi1ELi128ELi1EEEENST_IJLi1ELi2ELi0ELi3EEEES1Z_NST_IJLi4ELi1ELi1ELi1EEEES1Z_NST_IJLi1ELi1ELi1ELi1EEEES1X_S1Y_S1Z_S1Z_S20_S1Z_S21_NST_IJLi0ELi1ELi2ELi3ELi4ELi5EEEELi5ELi4EEEfNS5_IJPKfEEEfS8_S8_S9_NSB_INS5_IJSE_SG_SI_SI_SG_SG_SK_SK_SG_SN_SN_SP_SP_SR_SG_SG_NSQ_INS5_IJiNS_17integral_constantIiLi128EEEEEELb0EEENSF_INS27_IiLi1EEEEEEEENS5_IJSU_SV_SW_SX_SY_SZ_S10_S11_S12_S13_S14_S15_S16_S17_S18_NST_IJLi19EEEES1G_NST_IJLi20EEEEEEENS5_IJS1A_SZ_S10_S11_S12_S1B_S1C_S1D_S1E_S15_S16_S18_S17_S1F_S1G_NST_IJLi22EEEENST_IJLi23ELi24EEEENST_IJLi25EEEEEEENST_IJLi22ELi23ELi24ELi25EEEElEENSB_INS5_IJSR_SP_SP_SR_SG_SG_S2A_S2C_EEENS5_IJSU_SV_SW_SY_SX_SZ_S11_S10_EEENS5_IJS1M_SX_SY_S1N_S11_S12_NST_IJLi9ELi10EEEENST_IJLi11EEEEEEENST_IJLi8ELi9ELi10ELi11EEEElEENS5_IJNSB_INS5_IJSK_SP_SP_NSQ_INS5_IJiNS27_IiLi2EEENS27_IiLi64EEEEEELb0EEES2X_EEENS5_IJSU_SV_SW_SX_SY_EEENS5_IJS1M_SX_SY_NST_IJLi5ELi6ELi7EEEENST_IJLi8ELi9ELi10EEEEEEENST_IJLi5ELi6ELi7ELi8ELi9ELi10EEEElEEEEES34_NS_31BlockToCTileMap_M00_N00_M01_N01ILi128ELi128ES1V_Lb0EEENS1_30ComputePtrOffsetOfStridedBatchILi1ELi1ELi1EvEELb1ELb0EEEvPKT0_S3C_T1_PT2_T3_T4_T5_iT6_T7_T8_T9_T10_T11_,"axG",@progbits,_ZN2ck16tensor_operation6device12_GLOBAL__N_137kernel_grouped_conv_fwd_dl_multiple_dINS_32GridwiseGemmDlMultipleD_km_kn_mnILi256EffNS_5TupleIJfEEEfNS0_12element_wise11PassThroughES8_NS7_7AddReluELNS_25InMemoryDataOperationEnumE0ENS_16TensorDescriptorINS5_IJNS_5EmbedINS5_IJiiiiEEESD_Lb0EEENS_11PassThroughIiEENS_3PadIiiiLb0EEESI_SG_SG_NSC_INS5_IJiiEEESJ_Lb0EEESK_SG_NS_23Merge_v2_magic_divisionINS5_IJiiiEEEEESN_NS_8RightPadIiiLb0EEESP_NS_7UnMergeISJ_Lb0EEESG_EEENS5_IJNS_8SequenceIJLi0EEEENST_IJLi1EEEENST_IJLi2EEEENST_IJLi3EEEENST_IJLi4EEEENST_IJLi5EEEENST_IJLi6EEEENST_IJLi7EEEENST_IJLi8EEEENST_IJLi9ELi11ELi13EEEENST_IJLi10ELi12ELi14EEEENST_IJLi15EEEENST_IJLi16EEEENST_IJLi18EEEENST_IJLi17EEEEEEENS5_IJNST_IJLi1ELi2ELi3ELi4EEEESZ_S10_S11_S12_NST_IJLi9EEEENST_IJLi10ELi11EEEENST_IJLi12ELi13EEEENST_IJLi14EEEES15_S16_S18_S17_NST_IJLi19ELi20EEEENST_IJLi21EEEEEEENST_IJLi19ELi21ELi20EEEElEENSB_INS5_IJSR_SP_SP_SR_SG_EEENS5_IJSU_SV_SW_SY_SX_EEENS5_IJNST_IJLi1ELi2EEEESX_SY_NST_IJLi5ELi6EEEES11_EEENST_IJLi5ELi7ELi6EEEElEENSB_INS5_IJSK_SP_SP_EEENS5_IJSU_SV_SW_EEENS5_IJS1M_SX_SY_EEENST_IJLi3ELi4EEEElEELi128ELi128ELi16ELi1ELi4ELi4ELi1ENST_IJLi8ELi2EEEES1W_NST_IJLi8ELi1ELi1ELi1EEEENST_IJLi2ELi1ELi128ELi1EEEENST_IJLi1ELi2ELi0ELi3EEEES1Z_NST_IJLi4ELi1ELi1ELi1EEEES1Z_NST_IJLi1ELi1ELi1ELi1EEEES1X_S1Y_S1Z_S1Z_S20_S1Z_S21_NST_IJLi0ELi1ELi2ELi3ELi4ELi5EEEELi5ELi4EEEfNS5_IJPKfEEEfS8_S8_S9_NSB_INS5_IJSE_SG_SI_SI_SG_SG_SK_SK_SG_SN_SN_SP_SP_SR_SG_SG_NSQ_INS5_IJiNS_17integral_constantIiLi128EEEEEELb0EEENSF_INS27_IiLi1EEEEEEEENS5_IJSU_SV_SW_SX_SY_SZ_S10_S11_S12_S13_S14_S15_S16_S17_S18_NST_IJLi19EEEES1G_NST_IJLi20EEEEEEENS5_IJS1A_SZ_S10_S11_S12_S1B_S1C_S1D_S1E_S15_S16_S18_S17_S1F_S1G_NST_IJLi22EEEENST_IJLi23ELi24EEEENST_IJLi25EEEEEEENST_IJLi22ELi23ELi24ELi25EEEElEENSB_INS5_IJSR_SP_SP_SR_SG_SG_S2A_S2C_EEENS5_IJSU_SV_SW_SY_SX_SZ_S11_S10_EEENS5_IJS1M_SX_SY_S1N_S11_S12_NST_IJLi9ELi10EEEENST_IJLi11EEEEEEENST_IJLi8ELi9ELi10ELi11EEEElEENS5_IJNSB_INS5_IJSK_SP_SP_NSQ_INS5_IJiNS27_IiLi2EEENS27_IiLi64EEEEEELb0EEES2X_EEENS5_IJSU_SV_SW_SX_SY_EEENS5_IJS1M_SX_SY_NST_IJLi5ELi6ELi7EEEENST_IJLi8ELi9ELi10EEEEEEENST_IJLi5ELi6ELi7ELi8ELi9ELi10EEEElEEEEES34_NS_31BlockToCTileMap_M00_N00_M01_N01ILi128ELi128ES1V_Lb0EEENS1_30ComputePtrOffsetOfStridedBatchILi1ELi1ELi1EvEELb1ELb0EEEvPKT0_S3C_T1_PT2_T3_T4_T5_iT6_T7_T8_T9_T10_T11_,comdat
.Lfunc_end10:
	.size	_ZN2ck16tensor_operation6device12_GLOBAL__N_137kernel_grouped_conv_fwd_dl_multiple_dINS_32GridwiseGemmDlMultipleD_km_kn_mnILi256EffNS_5TupleIJfEEEfNS0_12element_wise11PassThroughES8_NS7_7AddReluELNS_25InMemoryDataOperationEnumE0ENS_16TensorDescriptorINS5_IJNS_5EmbedINS5_IJiiiiEEESD_Lb0EEENS_11PassThroughIiEENS_3PadIiiiLb0EEESI_SG_SG_NSC_INS5_IJiiEEESJ_Lb0EEESK_SG_NS_23Merge_v2_magic_divisionINS5_IJiiiEEEEESN_NS_8RightPadIiiLb0EEESP_NS_7UnMergeISJ_Lb0EEESG_EEENS5_IJNS_8SequenceIJLi0EEEENST_IJLi1EEEENST_IJLi2EEEENST_IJLi3EEEENST_IJLi4EEEENST_IJLi5EEEENST_IJLi6EEEENST_IJLi7EEEENST_IJLi8EEEENST_IJLi9ELi11ELi13EEEENST_IJLi10ELi12ELi14EEEENST_IJLi15EEEENST_IJLi16EEEENST_IJLi18EEEENST_IJLi17EEEEEEENS5_IJNST_IJLi1ELi2ELi3ELi4EEEESZ_S10_S11_S12_NST_IJLi9EEEENST_IJLi10ELi11EEEENST_IJLi12ELi13EEEENST_IJLi14EEEES15_S16_S18_S17_NST_IJLi19ELi20EEEENST_IJLi21EEEEEEENST_IJLi19ELi21ELi20EEEElEENSB_INS5_IJSR_SP_SP_SR_SG_EEENS5_IJSU_SV_SW_SY_SX_EEENS5_IJNST_IJLi1ELi2EEEESX_SY_NST_IJLi5ELi6EEEES11_EEENST_IJLi5ELi7ELi6EEEElEENSB_INS5_IJSK_SP_SP_EEENS5_IJSU_SV_SW_EEENS5_IJS1M_SX_SY_EEENST_IJLi3ELi4EEEElEELi128ELi128ELi16ELi1ELi4ELi4ELi1ENST_IJLi8ELi2EEEES1W_NST_IJLi8ELi1ELi1ELi1EEEENST_IJLi2ELi1ELi128ELi1EEEENST_IJLi1ELi2ELi0ELi3EEEES1Z_NST_IJLi4ELi1ELi1ELi1EEEES1Z_NST_IJLi1ELi1ELi1ELi1EEEES1X_S1Y_S1Z_S1Z_S20_S1Z_S21_NST_IJLi0ELi1ELi2ELi3ELi4ELi5EEEELi5ELi4EEEfNS5_IJPKfEEEfS8_S8_S9_NSB_INS5_IJSE_SG_SI_SI_SG_SG_SK_SK_SG_SN_SN_SP_SP_SR_SG_SG_NSQ_INS5_IJiNS_17integral_constantIiLi128EEEEEELb0EEENSF_INS27_IiLi1EEEEEEEENS5_IJSU_SV_SW_SX_SY_SZ_S10_S11_S12_S13_S14_S15_S16_S17_S18_NST_IJLi19EEEES1G_NST_IJLi20EEEEEEENS5_IJS1A_SZ_S10_S11_S12_S1B_S1C_S1D_S1E_S15_S16_S18_S17_S1F_S1G_NST_IJLi22EEEENST_IJLi23ELi24EEEENST_IJLi25EEEEEEENST_IJLi22ELi23ELi24ELi25EEEElEENSB_INS5_IJSR_SP_SP_SR_SG_SG_S2A_S2C_EEENS5_IJSU_SV_SW_SY_SX_SZ_S11_S10_EEENS5_IJS1M_SX_SY_S1N_S11_S12_NST_IJLi9ELi10EEEENST_IJLi11EEEEEEENST_IJLi8ELi9ELi10ELi11EEEElEENS5_IJNSB_INS5_IJSK_SP_SP_NSQ_INS5_IJiNS27_IiLi2EEENS27_IiLi64EEEEEELb0EEES2X_EEENS5_IJSU_SV_SW_SX_SY_EEENS5_IJS1M_SX_SY_NST_IJLi5ELi6ELi7EEEENST_IJLi8ELi9ELi10EEEEEEENST_IJLi5ELi6ELi7ELi8ELi9ELi10EEEElEEEEES34_NS_31BlockToCTileMap_M00_N00_M01_N01ILi128ELi128ES1V_Lb0EEENS1_30ComputePtrOffsetOfStridedBatchILi1ELi1ELi1EvEELb1ELb0EEEvPKT0_S3C_T1_PT2_T3_T4_T5_iT6_T7_T8_T9_T10_T11_, .Lfunc_end10-_ZN2ck16tensor_operation6device12_GLOBAL__N_137kernel_grouped_conv_fwd_dl_multiple_dINS_32GridwiseGemmDlMultipleD_km_kn_mnILi256EffNS_5TupleIJfEEEfNS0_12element_wise11PassThroughES8_NS7_7AddReluELNS_25InMemoryDataOperationEnumE0ENS_16TensorDescriptorINS5_IJNS_5EmbedINS5_IJiiiiEEESD_Lb0EEENS_11PassThroughIiEENS_3PadIiiiLb0EEESI_SG_SG_NSC_INS5_IJiiEEESJ_Lb0EEESK_SG_NS_23Merge_v2_magic_divisionINS5_IJiiiEEEEESN_NS_8RightPadIiiLb0EEESP_NS_7UnMergeISJ_Lb0EEESG_EEENS5_IJNS_8SequenceIJLi0EEEENST_IJLi1EEEENST_IJLi2EEEENST_IJLi3EEEENST_IJLi4EEEENST_IJLi5EEEENST_IJLi6EEEENST_IJLi7EEEENST_IJLi8EEEENST_IJLi9ELi11ELi13EEEENST_IJLi10ELi12ELi14EEEENST_IJLi15EEEENST_IJLi16EEEENST_IJLi18EEEENST_IJLi17EEEEEEENS5_IJNST_IJLi1ELi2ELi3ELi4EEEESZ_S10_S11_S12_NST_IJLi9EEEENST_IJLi10ELi11EEEENST_IJLi12ELi13EEEENST_IJLi14EEEES15_S16_S18_S17_NST_IJLi19ELi20EEEENST_IJLi21EEEEEEENST_IJLi19ELi21ELi20EEEElEENSB_INS5_IJSR_SP_SP_SR_SG_EEENS5_IJSU_SV_SW_SY_SX_EEENS5_IJNST_IJLi1ELi2EEEESX_SY_NST_IJLi5ELi6EEEES11_EEENST_IJLi5ELi7ELi6EEEElEENSB_INS5_IJSK_SP_SP_EEENS5_IJSU_SV_SW_EEENS5_IJS1M_SX_SY_EEENST_IJLi3ELi4EEEElEELi128ELi128ELi16ELi1ELi4ELi4ELi1ENST_IJLi8ELi2EEEES1W_NST_IJLi8ELi1ELi1ELi1EEEENST_IJLi2ELi1ELi128ELi1EEEENST_IJLi1ELi2ELi0ELi3EEEES1Z_NST_IJLi4ELi1ELi1ELi1EEEES1Z_NST_IJLi1ELi1ELi1ELi1EEEES1X_S1Y_S1Z_S1Z_S20_S1Z_S21_NST_IJLi0ELi1ELi2ELi3ELi4ELi5EEEELi5ELi4EEEfNS5_IJPKfEEEfS8_S8_S9_NSB_INS5_IJSE_SG_SI_SI_SG_SG_SK_SK_SG_SN_SN_SP_SP_SR_SG_SG_NSQ_INS5_IJiNS_17integral_constantIiLi128EEEEEELb0EEENSF_INS27_IiLi1EEEEEEEENS5_IJSU_SV_SW_SX_SY_SZ_S10_S11_S12_S13_S14_S15_S16_S17_S18_NST_IJLi19EEEES1G_NST_IJLi20EEEEEEENS5_IJS1A_SZ_S10_S11_S12_S1B_S1C_S1D_S1E_S15_S16_S18_S17_S1F_S1G_NST_IJLi22EEEENST_IJLi23ELi24EEEENST_IJLi25EEEEEEENST_IJLi22ELi23ELi24ELi25EEEElEENSB_INS5_IJSR_SP_SP_SR_SG_SG_S2A_S2C_EEENS5_IJSU_SV_SW_SY_SX_SZ_S11_S10_EEENS5_IJS1M_SX_SY_S1N_S11_S12_NST_IJLi9ELi10EEEENST_IJLi11EEEEEEENST_IJLi8ELi9ELi10ELi11EEEElEENS5_IJNSB_INS5_IJSK_SP_SP_NSQ_INS5_IJiNS27_IiLi2EEENS27_IiLi64EEEEEELb0EEES2X_EEENS5_IJSU_SV_SW_SX_SY_EEENS5_IJS1M_SX_SY_NST_IJLi5ELi6ELi7EEEENST_IJLi8ELi9ELi10EEEEEEENST_IJLi5ELi6ELi7ELi8ELi9ELi10EEEElEEEEES34_NS_31BlockToCTileMap_M00_N00_M01_N01ILi128ELi128ES1V_Lb0EEENS1_30ComputePtrOffsetOfStridedBatchILi1ELi1ELi1EvEELb1ELb0EEEvPKT0_S3C_T1_PT2_T3_T4_T5_iT6_T7_T8_T9_T10_T11_
                                        ; -- End function
	.section	.AMDGPU.csdata,"",@progbits
; Kernel info:
; codeLenInByte = 2708
; NumSgprs: 98
; NumVgprs: 128
; NumAgprs: 14
; TotalNumVgprs: 142
; ScratchSize: 640
; MemoryBound: 0
; FloatMode: 240
; IeeeMode: 1
; LDSByteSize: 32768 bytes/workgroup (compile time only)
; SGPRBlocks: 12
; VGPRBlocks: 17
; NumSGPRsForWavesPerEU: 98
; NumVGPRsForWavesPerEU: 142
; AccumOffset: 128
; Occupancy: 2
; WaveLimiterHint : 1
; COMPUTE_PGM_RSRC2:SCRATCH_EN: 1
; COMPUTE_PGM_RSRC2:USER_SGPR: 8
; COMPUTE_PGM_RSRC2:TRAP_HANDLER: 0
; COMPUTE_PGM_RSRC2:TGID_X_EN: 1
; COMPUTE_PGM_RSRC2:TGID_Y_EN: 0
; COMPUTE_PGM_RSRC2:TGID_Z_EN: 0
; COMPUTE_PGM_RSRC2:TIDIG_COMP_CNT: 0
; COMPUTE_PGM_RSRC3_GFX90A:ACCUM_OFFSET: 31
; COMPUTE_PGM_RSRC3_GFX90A:TG_SPLIT: 0
	.section	.text._ZN2ck16tensor_operation6device12_GLOBAL__N_137kernel_grouped_conv_fwd_dl_multiple_dINS_32GridwiseGemmDlMultipleD_km_kn_mnILi256EffNS_5TupleIJfEEEfNS0_12element_wise11PassThroughES8_NS7_7AddReluELNS_25InMemoryDataOperationEnumE0ENS_16TensorDescriptorINS5_IJNS_5EmbedINS5_IJiiiiEEESD_Lb0EEENS_11PassThroughIiEENS_3PadIiiiLb0EEESI_SG_SG_NSC_INS5_IJiiEEESJ_Lb0EEESK_SG_NS_23Merge_v2_magic_divisionINS5_IJiiiEEEEESN_NS_8RightPadIiiLb0EEESP_NS_7UnMergeISJ_Lb0EEESG_EEENS5_IJNS_8SequenceIJLi0EEEENST_IJLi1EEEENST_IJLi2EEEENST_IJLi3EEEENST_IJLi4EEEENST_IJLi5EEEENST_IJLi6EEEENST_IJLi7EEEENST_IJLi8EEEENST_IJLi9ELi11ELi13EEEENST_IJLi10ELi12ELi14EEEENST_IJLi15EEEENST_IJLi16EEEENST_IJLi18EEEENST_IJLi17EEEEEEENS5_IJNST_IJLi1ELi2ELi3ELi4EEEESZ_S10_S11_S12_NST_IJLi9EEEENST_IJLi10ELi11EEEENST_IJLi12ELi13EEEENST_IJLi14EEEES15_S16_S18_S17_NST_IJLi19ELi20EEEENST_IJLi21EEEEEEENST_IJLi19ELi21ELi20EEEElEENSB_INS5_IJSR_SP_SP_SR_SG_EEENS5_IJSU_SV_SW_SY_SX_EEENS5_IJNST_IJLi1ELi2EEEESX_SY_NST_IJLi5ELi6EEEES11_EEENST_IJLi5ELi7ELi6EEEElEENSB_INS5_IJSK_SP_SP_EEENS5_IJSU_SV_SW_EEENS5_IJS1M_SX_SY_EEENST_IJLi3ELi4EEEElEELi128ELi128ELi16ELi1ELi4ELi4ELi1ENST_IJLi8ELi2EEEES1W_NST_IJLi8ELi1ELi1ELi1EEEENST_IJLi2ELi1ELi128ELi1EEEENST_IJLi1ELi2ELi0ELi3EEEES1Z_NST_IJLi4ELi1ELi1ELi1EEEES1Z_NST_IJLi1ELi1ELi1ELi1EEEES1X_S1Y_S1Z_S1Z_S20_S1Z_S21_NST_IJLi0ELi1ELi2ELi3ELi4ELi5EEEELi5ELi4EEEfNS5_IJPKfEEEfS8_S8_S9_NSB_INS5_IJSE_SG_SI_SI_SG_SG_SK_SK_SG_SN_SN_SP_SP_SR_SG_SG_NSQ_INS5_IJiNS_17integral_constantIiLi128EEEEEELb0EEENSF_INS27_IiLi1EEEEEEEENS5_IJSU_SV_SW_SX_SY_SZ_S10_S11_S12_S13_S14_S15_S16_S17_S18_NST_IJLi19EEEES1G_NST_IJLi20EEEEEEENS5_IJS1A_SZ_S10_S11_S12_S1B_S1C_S1D_S1E_S15_S16_S18_S17_S1F_S1G_NST_IJLi22EEEENST_IJLi23ELi24EEEENST_IJLi25EEEEEEENST_IJLi22ELi23ELi24ELi25EEEElEENSB_INS5_IJSR_SP_SP_SR_SG_SG_S2A_S2C_EEENS5_IJSU_SV_SW_SY_SX_SZ_S11_S10_EEENS5_IJS1M_SX_SY_S1N_S11_S12_NST_IJLi9ELi10EEEENST_IJLi11EEEEEEENST_IJLi8ELi9ELi10ELi11EEEElEENS5_IJNSB_INS5_IJSK_SP_SP_NSQ_INS5_IJiNS27_IiLi2EEENS27_IiLi64EEEEEELb0EEES2X_EEENS5_IJSU_SV_SW_SX_SY_EEENS5_IJS1M_SX_SY_NST_IJLi5ELi6ELi7EEEENST_IJLi8ELi9ELi10EEEEEEENST_IJLi5ELi6ELi7ELi8ELi9ELi10EEEElEEEEES34_NS_31BlockToCTileMap_M00_N00_M01_N01ILi128ELi128ES1V_Lb0EEENS1_30ComputePtrOffsetOfStridedBatchILi1ELi1ELi1EvEELb0ELb1EEEvPKT0_S3C_T1_PT2_T3_T4_T5_iT6_T7_T8_T9_T10_T11_,"axG",@progbits,_ZN2ck16tensor_operation6device12_GLOBAL__N_137kernel_grouped_conv_fwd_dl_multiple_dINS_32GridwiseGemmDlMultipleD_km_kn_mnILi256EffNS_5TupleIJfEEEfNS0_12element_wise11PassThroughES8_NS7_7AddReluELNS_25InMemoryDataOperationEnumE0ENS_16TensorDescriptorINS5_IJNS_5EmbedINS5_IJiiiiEEESD_Lb0EEENS_11PassThroughIiEENS_3PadIiiiLb0EEESI_SG_SG_NSC_INS5_IJiiEEESJ_Lb0EEESK_SG_NS_23Merge_v2_magic_divisionINS5_IJiiiEEEEESN_NS_8RightPadIiiLb0EEESP_NS_7UnMergeISJ_Lb0EEESG_EEENS5_IJNS_8SequenceIJLi0EEEENST_IJLi1EEEENST_IJLi2EEEENST_IJLi3EEEENST_IJLi4EEEENST_IJLi5EEEENST_IJLi6EEEENST_IJLi7EEEENST_IJLi8EEEENST_IJLi9ELi11ELi13EEEENST_IJLi10ELi12ELi14EEEENST_IJLi15EEEENST_IJLi16EEEENST_IJLi18EEEENST_IJLi17EEEEEEENS5_IJNST_IJLi1ELi2ELi3ELi4EEEESZ_S10_S11_S12_NST_IJLi9EEEENST_IJLi10ELi11EEEENST_IJLi12ELi13EEEENST_IJLi14EEEES15_S16_S18_S17_NST_IJLi19ELi20EEEENST_IJLi21EEEEEEENST_IJLi19ELi21ELi20EEEElEENSB_INS5_IJSR_SP_SP_SR_SG_EEENS5_IJSU_SV_SW_SY_SX_EEENS5_IJNST_IJLi1ELi2EEEESX_SY_NST_IJLi5ELi6EEEES11_EEENST_IJLi5ELi7ELi6EEEElEENSB_INS5_IJSK_SP_SP_EEENS5_IJSU_SV_SW_EEENS5_IJS1M_SX_SY_EEENST_IJLi3ELi4EEEElEELi128ELi128ELi16ELi1ELi4ELi4ELi1ENST_IJLi8ELi2EEEES1W_NST_IJLi8ELi1ELi1ELi1EEEENST_IJLi2ELi1ELi128ELi1EEEENST_IJLi1ELi2ELi0ELi3EEEES1Z_NST_IJLi4ELi1ELi1ELi1EEEES1Z_NST_IJLi1ELi1ELi1ELi1EEEES1X_S1Y_S1Z_S1Z_S20_S1Z_S21_NST_IJLi0ELi1ELi2ELi3ELi4ELi5EEEELi5ELi4EEEfNS5_IJPKfEEEfS8_S8_S9_NSB_INS5_IJSE_SG_SI_SI_SG_SG_SK_SK_SG_SN_SN_SP_SP_SR_SG_SG_NSQ_INS5_IJiNS_17integral_constantIiLi128EEEEEELb0EEENSF_INS27_IiLi1EEEEEEEENS5_IJSU_SV_SW_SX_SY_SZ_S10_S11_S12_S13_S14_S15_S16_S17_S18_NST_IJLi19EEEES1G_NST_IJLi20EEEEEEENS5_IJS1A_SZ_S10_S11_S12_S1B_S1C_S1D_S1E_S15_S16_S18_S17_S1F_S1G_NST_IJLi22EEEENST_IJLi23ELi24EEEENST_IJLi25EEEEEEENST_IJLi22ELi23ELi24ELi25EEEElEENSB_INS5_IJSR_SP_SP_SR_SG_SG_S2A_S2C_EEENS5_IJSU_SV_SW_SY_SX_SZ_S11_S10_EEENS5_IJS1M_SX_SY_S1N_S11_S12_NST_IJLi9ELi10EEEENST_IJLi11EEEEEEENST_IJLi8ELi9ELi10ELi11EEEElEENS5_IJNSB_INS5_IJSK_SP_SP_NSQ_INS5_IJiNS27_IiLi2EEENS27_IiLi64EEEEEELb0EEES2X_EEENS5_IJSU_SV_SW_SX_SY_EEENS5_IJS1M_SX_SY_NST_IJLi5ELi6ELi7EEEENST_IJLi8ELi9ELi10EEEEEEENST_IJLi5ELi6ELi7ELi8ELi9ELi10EEEElEEEEES34_NS_31BlockToCTileMap_M00_N00_M01_N01ILi128ELi128ES1V_Lb0EEENS1_30ComputePtrOffsetOfStridedBatchILi1ELi1ELi1EvEELb0ELb1EEEvPKT0_S3C_T1_PT2_T3_T4_T5_iT6_T7_T8_T9_T10_T11_,comdat
	.globl	_ZN2ck16tensor_operation6device12_GLOBAL__N_137kernel_grouped_conv_fwd_dl_multiple_dINS_32GridwiseGemmDlMultipleD_km_kn_mnILi256EffNS_5TupleIJfEEEfNS0_12element_wise11PassThroughES8_NS7_7AddReluELNS_25InMemoryDataOperationEnumE0ENS_16TensorDescriptorINS5_IJNS_5EmbedINS5_IJiiiiEEESD_Lb0EEENS_11PassThroughIiEENS_3PadIiiiLb0EEESI_SG_SG_NSC_INS5_IJiiEEESJ_Lb0EEESK_SG_NS_23Merge_v2_magic_divisionINS5_IJiiiEEEEESN_NS_8RightPadIiiLb0EEESP_NS_7UnMergeISJ_Lb0EEESG_EEENS5_IJNS_8SequenceIJLi0EEEENST_IJLi1EEEENST_IJLi2EEEENST_IJLi3EEEENST_IJLi4EEEENST_IJLi5EEEENST_IJLi6EEEENST_IJLi7EEEENST_IJLi8EEEENST_IJLi9ELi11ELi13EEEENST_IJLi10ELi12ELi14EEEENST_IJLi15EEEENST_IJLi16EEEENST_IJLi18EEEENST_IJLi17EEEEEEENS5_IJNST_IJLi1ELi2ELi3ELi4EEEESZ_S10_S11_S12_NST_IJLi9EEEENST_IJLi10ELi11EEEENST_IJLi12ELi13EEEENST_IJLi14EEEES15_S16_S18_S17_NST_IJLi19ELi20EEEENST_IJLi21EEEEEEENST_IJLi19ELi21ELi20EEEElEENSB_INS5_IJSR_SP_SP_SR_SG_EEENS5_IJSU_SV_SW_SY_SX_EEENS5_IJNST_IJLi1ELi2EEEESX_SY_NST_IJLi5ELi6EEEES11_EEENST_IJLi5ELi7ELi6EEEElEENSB_INS5_IJSK_SP_SP_EEENS5_IJSU_SV_SW_EEENS5_IJS1M_SX_SY_EEENST_IJLi3ELi4EEEElEELi128ELi128ELi16ELi1ELi4ELi4ELi1ENST_IJLi8ELi2EEEES1W_NST_IJLi8ELi1ELi1ELi1EEEENST_IJLi2ELi1ELi128ELi1EEEENST_IJLi1ELi2ELi0ELi3EEEES1Z_NST_IJLi4ELi1ELi1ELi1EEEES1Z_NST_IJLi1ELi1ELi1ELi1EEEES1X_S1Y_S1Z_S1Z_S20_S1Z_S21_NST_IJLi0ELi1ELi2ELi3ELi4ELi5EEEELi5ELi4EEEfNS5_IJPKfEEEfS8_S8_S9_NSB_INS5_IJSE_SG_SI_SI_SG_SG_SK_SK_SG_SN_SN_SP_SP_SR_SG_SG_NSQ_INS5_IJiNS_17integral_constantIiLi128EEEEEELb0EEENSF_INS27_IiLi1EEEEEEEENS5_IJSU_SV_SW_SX_SY_SZ_S10_S11_S12_S13_S14_S15_S16_S17_S18_NST_IJLi19EEEES1G_NST_IJLi20EEEEEEENS5_IJS1A_SZ_S10_S11_S12_S1B_S1C_S1D_S1E_S15_S16_S18_S17_S1F_S1G_NST_IJLi22EEEENST_IJLi23ELi24EEEENST_IJLi25EEEEEEENST_IJLi22ELi23ELi24ELi25EEEElEENSB_INS5_IJSR_SP_SP_SR_SG_SG_S2A_S2C_EEENS5_IJSU_SV_SW_SY_SX_SZ_S11_S10_EEENS5_IJS1M_SX_SY_S1N_S11_S12_NST_IJLi9ELi10EEEENST_IJLi11EEEEEEENST_IJLi8ELi9ELi10ELi11EEEElEENS5_IJNSB_INS5_IJSK_SP_SP_NSQ_INS5_IJiNS27_IiLi2EEENS27_IiLi64EEEEEELb0EEES2X_EEENS5_IJSU_SV_SW_SX_SY_EEENS5_IJS1M_SX_SY_NST_IJLi5ELi6ELi7EEEENST_IJLi8ELi9ELi10EEEEEEENST_IJLi5ELi6ELi7ELi8ELi9ELi10EEEElEEEEES34_NS_31BlockToCTileMap_M00_N00_M01_N01ILi128ELi128ES1V_Lb0EEENS1_30ComputePtrOffsetOfStridedBatchILi1ELi1ELi1EvEELb0ELb1EEEvPKT0_S3C_T1_PT2_T3_T4_T5_iT6_T7_T8_T9_T10_T11_ ; -- Begin function _ZN2ck16tensor_operation6device12_GLOBAL__N_137kernel_grouped_conv_fwd_dl_multiple_dINS_32GridwiseGemmDlMultipleD_km_kn_mnILi256EffNS_5TupleIJfEEEfNS0_12element_wise11PassThroughES8_NS7_7AddReluELNS_25InMemoryDataOperationEnumE0ENS_16TensorDescriptorINS5_IJNS_5EmbedINS5_IJiiiiEEESD_Lb0EEENS_11PassThroughIiEENS_3PadIiiiLb0EEESI_SG_SG_NSC_INS5_IJiiEEESJ_Lb0EEESK_SG_NS_23Merge_v2_magic_divisionINS5_IJiiiEEEEESN_NS_8RightPadIiiLb0EEESP_NS_7UnMergeISJ_Lb0EEESG_EEENS5_IJNS_8SequenceIJLi0EEEENST_IJLi1EEEENST_IJLi2EEEENST_IJLi3EEEENST_IJLi4EEEENST_IJLi5EEEENST_IJLi6EEEENST_IJLi7EEEENST_IJLi8EEEENST_IJLi9ELi11ELi13EEEENST_IJLi10ELi12ELi14EEEENST_IJLi15EEEENST_IJLi16EEEENST_IJLi18EEEENST_IJLi17EEEEEEENS5_IJNST_IJLi1ELi2ELi3ELi4EEEESZ_S10_S11_S12_NST_IJLi9EEEENST_IJLi10ELi11EEEENST_IJLi12ELi13EEEENST_IJLi14EEEES15_S16_S18_S17_NST_IJLi19ELi20EEEENST_IJLi21EEEEEEENST_IJLi19ELi21ELi20EEEElEENSB_INS5_IJSR_SP_SP_SR_SG_EEENS5_IJSU_SV_SW_SY_SX_EEENS5_IJNST_IJLi1ELi2EEEESX_SY_NST_IJLi5ELi6EEEES11_EEENST_IJLi5ELi7ELi6EEEElEENSB_INS5_IJSK_SP_SP_EEENS5_IJSU_SV_SW_EEENS5_IJS1M_SX_SY_EEENST_IJLi3ELi4EEEElEELi128ELi128ELi16ELi1ELi4ELi4ELi1ENST_IJLi8ELi2EEEES1W_NST_IJLi8ELi1ELi1ELi1EEEENST_IJLi2ELi1ELi128ELi1EEEENST_IJLi1ELi2ELi0ELi3EEEES1Z_NST_IJLi4ELi1ELi1ELi1EEEES1Z_NST_IJLi1ELi1ELi1ELi1EEEES1X_S1Y_S1Z_S1Z_S20_S1Z_S21_NST_IJLi0ELi1ELi2ELi3ELi4ELi5EEEELi5ELi4EEEfNS5_IJPKfEEEfS8_S8_S9_NSB_INS5_IJSE_SG_SI_SI_SG_SG_SK_SK_SG_SN_SN_SP_SP_SR_SG_SG_NSQ_INS5_IJiNS_17integral_constantIiLi128EEEEEELb0EEENSF_INS27_IiLi1EEEEEEEENS5_IJSU_SV_SW_SX_SY_SZ_S10_S11_S12_S13_S14_S15_S16_S17_S18_NST_IJLi19EEEES1G_NST_IJLi20EEEEEEENS5_IJS1A_SZ_S10_S11_S12_S1B_S1C_S1D_S1E_S15_S16_S18_S17_S1F_S1G_NST_IJLi22EEEENST_IJLi23ELi24EEEENST_IJLi25EEEEEEENST_IJLi22ELi23ELi24ELi25EEEElEENSB_INS5_IJSR_SP_SP_SR_SG_SG_S2A_S2C_EEENS5_IJSU_SV_SW_SY_SX_SZ_S11_S10_EEENS5_IJS1M_SX_SY_S1N_S11_S12_NST_IJLi9ELi10EEEENST_IJLi11EEEEEEENST_IJLi8ELi9ELi10ELi11EEEElEENS5_IJNSB_INS5_IJSK_SP_SP_NSQ_INS5_IJiNS27_IiLi2EEENS27_IiLi64EEEEEELb0EEES2X_EEENS5_IJSU_SV_SW_SX_SY_EEENS5_IJS1M_SX_SY_NST_IJLi5ELi6ELi7EEEENST_IJLi8ELi9ELi10EEEEEEENST_IJLi5ELi6ELi7ELi8ELi9ELi10EEEElEEEEES34_NS_31BlockToCTileMap_M00_N00_M01_N01ILi128ELi128ES1V_Lb0EEENS1_30ComputePtrOffsetOfStridedBatchILi1ELi1ELi1EvEELb0ELb1EEEvPKT0_S3C_T1_PT2_T3_T4_T5_iT6_T7_T8_T9_T10_T11_
	.p2align	8
	.type	_ZN2ck16tensor_operation6device12_GLOBAL__N_137kernel_grouped_conv_fwd_dl_multiple_dINS_32GridwiseGemmDlMultipleD_km_kn_mnILi256EffNS_5TupleIJfEEEfNS0_12element_wise11PassThroughES8_NS7_7AddReluELNS_25InMemoryDataOperationEnumE0ENS_16TensorDescriptorINS5_IJNS_5EmbedINS5_IJiiiiEEESD_Lb0EEENS_11PassThroughIiEENS_3PadIiiiLb0EEESI_SG_SG_NSC_INS5_IJiiEEESJ_Lb0EEESK_SG_NS_23Merge_v2_magic_divisionINS5_IJiiiEEEEESN_NS_8RightPadIiiLb0EEESP_NS_7UnMergeISJ_Lb0EEESG_EEENS5_IJNS_8SequenceIJLi0EEEENST_IJLi1EEEENST_IJLi2EEEENST_IJLi3EEEENST_IJLi4EEEENST_IJLi5EEEENST_IJLi6EEEENST_IJLi7EEEENST_IJLi8EEEENST_IJLi9ELi11ELi13EEEENST_IJLi10ELi12ELi14EEEENST_IJLi15EEEENST_IJLi16EEEENST_IJLi18EEEENST_IJLi17EEEEEEENS5_IJNST_IJLi1ELi2ELi3ELi4EEEESZ_S10_S11_S12_NST_IJLi9EEEENST_IJLi10ELi11EEEENST_IJLi12ELi13EEEENST_IJLi14EEEES15_S16_S18_S17_NST_IJLi19ELi20EEEENST_IJLi21EEEEEEENST_IJLi19ELi21ELi20EEEElEENSB_INS5_IJSR_SP_SP_SR_SG_EEENS5_IJSU_SV_SW_SY_SX_EEENS5_IJNST_IJLi1ELi2EEEESX_SY_NST_IJLi5ELi6EEEES11_EEENST_IJLi5ELi7ELi6EEEElEENSB_INS5_IJSK_SP_SP_EEENS5_IJSU_SV_SW_EEENS5_IJS1M_SX_SY_EEENST_IJLi3ELi4EEEElEELi128ELi128ELi16ELi1ELi4ELi4ELi1ENST_IJLi8ELi2EEEES1W_NST_IJLi8ELi1ELi1ELi1EEEENST_IJLi2ELi1ELi128ELi1EEEENST_IJLi1ELi2ELi0ELi3EEEES1Z_NST_IJLi4ELi1ELi1ELi1EEEES1Z_NST_IJLi1ELi1ELi1ELi1EEEES1X_S1Y_S1Z_S1Z_S20_S1Z_S21_NST_IJLi0ELi1ELi2ELi3ELi4ELi5EEEELi5ELi4EEEfNS5_IJPKfEEEfS8_S8_S9_NSB_INS5_IJSE_SG_SI_SI_SG_SG_SK_SK_SG_SN_SN_SP_SP_SR_SG_SG_NSQ_INS5_IJiNS_17integral_constantIiLi128EEEEEELb0EEENSF_INS27_IiLi1EEEEEEEENS5_IJSU_SV_SW_SX_SY_SZ_S10_S11_S12_S13_S14_S15_S16_S17_S18_NST_IJLi19EEEES1G_NST_IJLi20EEEEEEENS5_IJS1A_SZ_S10_S11_S12_S1B_S1C_S1D_S1E_S15_S16_S18_S17_S1F_S1G_NST_IJLi22EEEENST_IJLi23ELi24EEEENST_IJLi25EEEEEEENST_IJLi22ELi23ELi24ELi25EEEElEENSB_INS5_IJSR_SP_SP_SR_SG_SG_S2A_S2C_EEENS5_IJSU_SV_SW_SY_SX_SZ_S11_S10_EEENS5_IJS1M_SX_SY_S1N_S11_S12_NST_IJLi9ELi10EEEENST_IJLi11EEEEEEENST_IJLi8ELi9ELi10ELi11EEEElEENS5_IJNSB_INS5_IJSK_SP_SP_NSQ_INS5_IJiNS27_IiLi2EEENS27_IiLi64EEEEEELb0EEES2X_EEENS5_IJSU_SV_SW_SX_SY_EEENS5_IJS1M_SX_SY_NST_IJLi5ELi6ELi7EEEENST_IJLi8ELi9ELi10EEEEEEENST_IJLi5ELi6ELi7ELi8ELi9ELi10EEEElEEEEES34_NS_31BlockToCTileMap_M00_N00_M01_N01ILi128ELi128ES1V_Lb0EEENS1_30ComputePtrOffsetOfStridedBatchILi1ELi1ELi1EvEELb0ELb1EEEvPKT0_S3C_T1_PT2_T3_T4_T5_iT6_T7_T8_T9_T10_T11_,@function
_ZN2ck16tensor_operation6device12_GLOBAL__N_137kernel_grouped_conv_fwd_dl_multiple_dINS_32GridwiseGemmDlMultipleD_km_kn_mnILi256EffNS_5TupleIJfEEEfNS0_12element_wise11PassThroughES8_NS7_7AddReluELNS_25InMemoryDataOperationEnumE0ENS_16TensorDescriptorINS5_IJNS_5EmbedINS5_IJiiiiEEESD_Lb0EEENS_11PassThroughIiEENS_3PadIiiiLb0EEESI_SG_SG_NSC_INS5_IJiiEEESJ_Lb0EEESK_SG_NS_23Merge_v2_magic_divisionINS5_IJiiiEEEEESN_NS_8RightPadIiiLb0EEESP_NS_7UnMergeISJ_Lb0EEESG_EEENS5_IJNS_8SequenceIJLi0EEEENST_IJLi1EEEENST_IJLi2EEEENST_IJLi3EEEENST_IJLi4EEEENST_IJLi5EEEENST_IJLi6EEEENST_IJLi7EEEENST_IJLi8EEEENST_IJLi9ELi11ELi13EEEENST_IJLi10ELi12ELi14EEEENST_IJLi15EEEENST_IJLi16EEEENST_IJLi18EEEENST_IJLi17EEEEEEENS5_IJNST_IJLi1ELi2ELi3ELi4EEEESZ_S10_S11_S12_NST_IJLi9EEEENST_IJLi10ELi11EEEENST_IJLi12ELi13EEEENST_IJLi14EEEES15_S16_S18_S17_NST_IJLi19ELi20EEEENST_IJLi21EEEEEEENST_IJLi19ELi21ELi20EEEElEENSB_INS5_IJSR_SP_SP_SR_SG_EEENS5_IJSU_SV_SW_SY_SX_EEENS5_IJNST_IJLi1ELi2EEEESX_SY_NST_IJLi5ELi6EEEES11_EEENST_IJLi5ELi7ELi6EEEElEENSB_INS5_IJSK_SP_SP_EEENS5_IJSU_SV_SW_EEENS5_IJS1M_SX_SY_EEENST_IJLi3ELi4EEEElEELi128ELi128ELi16ELi1ELi4ELi4ELi1ENST_IJLi8ELi2EEEES1W_NST_IJLi8ELi1ELi1ELi1EEEENST_IJLi2ELi1ELi128ELi1EEEENST_IJLi1ELi2ELi0ELi3EEEES1Z_NST_IJLi4ELi1ELi1ELi1EEEES1Z_NST_IJLi1ELi1ELi1ELi1EEEES1X_S1Y_S1Z_S1Z_S20_S1Z_S21_NST_IJLi0ELi1ELi2ELi3ELi4ELi5EEEELi5ELi4EEEfNS5_IJPKfEEEfS8_S8_S9_NSB_INS5_IJSE_SG_SI_SI_SG_SG_SK_SK_SG_SN_SN_SP_SP_SR_SG_SG_NSQ_INS5_IJiNS_17integral_constantIiLi128EEEEEELb0EEENSF_INS27_IiLi1EEEEEEEENS5_IJSU_SV_SW_SX_SY_SZ_S10_S11_S12_S13_S14_S15_S16_S17_S18_NST_IJLi19EEEES1G_NST_IJLi20EEEEEEENS5_IJS1A_SZ_S10_S11_S12_S1B_S1C_S1D_S1E_S15_S16_S18_S17_S1F_S1G_NST_IJLi22EEEENST_IJLi23ELi24EEEENST_IJLi25EEEEEEENST_IJLi22ELi23ELi24ELi25EEEElEENSB_INS5_IJSR_SP_SP_SR_SG_SG_S2A_S2C_EEENS5_IJSU_SV_SW_SY_SX_SZ_S11_S10_EEENS5_IJS1M_SX_SY_S1N_S11_S12_NST_IJLi9ELi10EEEENST_IJLi11EEEEEEENST_IJLi8ELi9ELi10ELi11EEEElEENS5_IJNSB_INS5_IJSK_SP_SP_NSQ_INS5_IJiNS27_IiLi2EEENS27_IiLi64EEEEEELb0EEES2X_EEENS5_IJSU_SV_SW_SX_SY_EEENS5_IJS1M_SX_SY_NST_IJLi5ELi6ELi7EEEENST_IJLi8ELi9ELi10EEEEEEENST_IJLi5ELi6ELi7ELi8ELi9ELi10EEEElEEEEES34_NS_31BlockToCTileMap_M00_N00_M01_N01ILi128ELi128ES1V_Lb0EEENS1_30ComputePtrOffsetOfStridedBatchILi1ELi1ELi1EvEELb0ELb1EEEvPKT0_S3C_T1_PT2_T3_T4_T5_iT6_T7_T8_T9_T10_T11_: ; @_ZN2ck16tensor_operation6device12_GLOBAL__N_137kernel_grouped_conv_fwd_dl_multiple_dINS_32GridwiseGemmDlMultipleD_km_kn_mnILi256EffNS_5TupleIJfEEEfNS0_12element_wise11PassThroughES8_NS7_7AddReluELNS_25InMemoryDataOperationEnumE0ENS_16TensorDescriptorINS5_IJNS_5EmbedINS5_IJiiiiEEESD_Lb0EEENS_11PassThroughIiEENS_3PadIiiiLb0EEESI_SG_SG_NSC_INS5_IJiiEEESJ_Lb0EEESK_SG_NS_23Merge_v2_magic_divisionINS5_IJiiiEEEEESN_NS_8RightPadIiiLb0EEESP_NS_7UnMergeISJ_Lb0EEESG_EEENS5_IJNS_8SequenceIJLi0EEEENST_IJLi1EEEENST_IJLi2EEEENST_IJLi3EEEENST_IJLi4EEEENST_IJLi5EEEENST_IJLi6EEEENST_IJLi7EEEENST_IJLi8EEEENST_IJLi9ELi11ELi13EEEENST_IJLi10ELi12ELi14EEEENST_IJLi15EEEENST_IJLi16EEEENST_IJLi18EEEENST_IJLi17EEEEEEENS5_IJNST_IJLi1ELi2ELi3ELi4EEEESZ_S10_S11_S12_NST_IJLi9EEEENST_IJLi10ELi11EEEENST_IJLi12ELi13EEEENST_IJLi14EEEES15_S16_S18_S17_NST_IJLi19ELi20EEEENST_IJLi21EEEEEEENST_IJLi19ELi21ELi20EEEElEENSB_INS5_IJSR_SP_SP_SR_SG_EEENS5_IJSU_SV_SW_SY_SX_EEENS5_IJNST_IJLi1ELi2EEEESX_SY_NST_IJLi5ELi6EEEES11_EEENST_IJLi5ELi7ELi6EEEElEENSB_INS5_IJSK_SP_SP_EEENS5_IJSU_SV_SW_EEENS5_IJS1M_SX_SY_EEENST_IJLi3ELi4EEEElEELi128ELi128ELi16ELi1ELi4ELi4ELi1ENST_IJLi8ELi2EEEES1W_NST_IJLi8ELi1ELi1ELi1EEEENST_IJLi2ELi1ELi128ELi1EEEENST_IJLi1ELi2ELi0ELi3EEEES1Z_NST_IJLi4ELi1ELi1ELi1EEEES1Z_NST_IJLi1ELi1ELi1ELi1EEEES1X_S1Y_S1Z_S1Z_S20_S1Z_S21_NST_IJLi0ELi1ELi2ELi3ELi4ELi5EEEELi5ELi4EEEfNS5_IJPKfEEEfS8_S8_S9_NSB_INS5_IJSE_SG_SI_SI_SG_SG_SK_SK_SG_SN_SN_SP_SP_SR_SG_SG_NSQ_INS5_IJiNS_17integral_constantIiLi128EEEEEELb0EEENSF_INS27_IiLi1EEEEEEEENS5_IJSU_SV_SW_SX_SY_SZ_S10_S11_S12_S13_S14_S15_S16_S17_S18_NST_IJLi19EEEES1G_NST_IJLi20EEEEEEENS5_IJS1A_SZ_S10_S11_S12_S1B_S1C_S1D_S1E_S15_S16_S18_S17_S1F_S1G_NST_IJLi22EEEENST_IJLi23ELi24EEEENST_IJLi25EEEEEEENST_IJLi22ELi23ELi24ELi25EEEElEENSB_INS5_IJSR_SP_SP_SR_SG_SG_S2A_S2C_EEENS5_IJSU_SV_SW_SY_SX_SZ_S11_S10_EEENS5_IJS1M_SX_SY_S1N_S11_S12_NST_IJLi9ELi10EEEENST_IJLi11EEEEEEENST_IJLi8ELi9ELi10ELi11EEEElEENS5_IJNSB_INS5_IJSK_SP_SP_NSQ_INS5_IJiNS27_IiLi2EEENS27_IiLi64EEEEEELb0EEES2X_EEENS5_IJSU_SV_SW_SX_SY_EEENS5_IJS1M_SX_SY_NST_IJLi5ELi6ELi7EEEENST_IJLi8ELi9ELi10EEEEEEENST_IJLi5ELi6ELi7ELi8ELi9ELi10EEEElEEEEES34_NS_31BlockToCTileMap_M00_N00_M01_N01ILi128ELi128ES1V_Lb0EEENS1_30ComputePtrOffsetOfStridedBatchILi1ELi1ELi1EvEELb0ELb1EEEvPKT0_S3C_T1_PT2_T3_T4_T5_iT6_T7_T8_T9_T10_T11_
; %bb.0:
	s_load_dwordx8 s[8:15], s[4:5], 0x0
	s_load_dword s0, s[4:5], 0x24
	s_load_dwordx4 s[28:31], s[4:5], 0x38
	s_load_dwordx4 s[24:27], s[4:5], 0x4c
	s_load_dwordx2 s[44:45], s[4:5], 0x5c
	s_load_dwordx2 s[46:47], s[4:5], 0x74
	;; [unrolled: 1-line block ×9, first 2 shown]
	s_waitcnt lgkmcnt(0)
	s_abs_i32 s1, s0
	v_cvt_f32_u32_e32 v1, s1
	s_load_dword s66, s[4:5], 0x100
	s_load_dword s69, s[4:5], 0x128
	;; [unrolled: 1-line block ×7, first 2 shown]
	s_sub_i32 s3, 0, s1
	s_load_dword s7, s[4:5], 0x188
	s_load_dwordx2 s[34:35], s[4:5], 0x198
	s_load_dword s33, s[4:5], 0x1a4
	s_load_dword s62, s[4:5], 0x1b0
	;; [unrolled: 1-line block ×3, first 2 shown]
	v_rcp_iflag_f32_e32 v1, v1
	v_lshlrev_b32_e32 v2, 3, v0
	s_waitcnt lgkmcnt(0)
	s_xor_b32 s0, s2, s0
	s_abs_i32 s2, s2
	v_mul_f32_e32 v1, 0x4f7ffffe, v1
	v_cvt_u32_f32_e32 v1, v1
	s_ashr_i32 s0, s0, 31
	v_and_b32_e32 v23, 8, v2
	v_mul_lo_u32 v25, s66, v23
	v_readfirstlane_b32 s16, v1
	s_mul_i32 s3, s3, s16
	s_mul_hi_u32 s3, s16, s3
	s_add_i32 s16, s16, s3
	s_mul_hi_u32 s3, s2, s16
	s_mul_i32 s16, s3, s1
	s_sub_i32 s2, s2, s16
	s_add_i32 s16, s3, 1
	s_sub_i32 s17, s2, s1
	s_cmp_ge_u32 s2, s1
	s_cselect_b32 s3, s16, s3
	s_cselect_b32 s2, s17, s2
	s_add_i32 s16, s3, 1
	s_cmp_ge_u32 s2, s1
	s_cselect_b32 s1, s16, s3
	s_xor_b32 s1, s1, s0
	s_sub_i32 s70, s1, s0
	s_abs_i32 s71, s70
	v_cvt_f32_u32_e32 v1, s71
	s_sub_i32 s75, 0, s71
	s_abs_i32 s74, s6
	s_xor_b32 s70, s6, s70
	v_rcp_iflag_f32_e32 v1, v1
	s_ashr_i32 s70, s70, 31
	s_load_dword s72, s[4:5], 0x244
	s_load_dword s73, s[4:5], 0x254
	s_load_dwordx4 s[0:3], s[4:5], 0x260
	s_load_dwordx4 s[36:39], s[4:5], 0x274
	;; [unrolled: 1-line block ×3, first 2 shown]
	s_load_dwordx8 s[16:23], s[4:5], 0x2a0
	v_mul_f32_e32 v1, 0x4f7ffffe, v1
	v_cvt_u32_f32_e32 v1, v1
	v_mul_hi_u32 v2, v25, s55
	v_add_u32_e32 v2, v25, v2
	v_lshrrev_b32_e32 v2, s53, v2
	v_readfirstlane_b32 s76, v1
	s_mul_i32 s75, s75, s76
	s_mul_hi_u32 s75, s76, s75
	s_add_i32 s76, s76, s75
	s_mul_hi_u32 s75, s74, s76
	s_mul_i32 s76, s75, s71
	s_sub_i32 s74, s74, s76
	s_add_i32 s76, s75, 1
	s_sub_i32 s77, s74, s71
	s_cmp_ge_u32 s74, s71
	s_cselect_b32 s75, s76, s75
	s_cselect_b32 s74, s77, s74
	s_add_i32 s76, s75, 1
	s_cmp_ge_u32 s74, s71
	s_cselect_b32 s71, s76, s75
	s_xor_b32 s71, s71, s70
	s_sub_i32 s74, s71, s70
	s_ashr_i32 s75, s74, 31
	s_waitcnt lgkmcnt(0)
	s_mul_i32 s70, s16, s75
	s_mul_hi_u32 s71, s16, s74
	s_add_i32 s70, s71, s70
	s_mul_i32 s17, s17, s74
	s_add_i32 s71, s70, s17
	s_mul_i32 s70, s16, s74
	s_mul_i32 s16, s18, s75
	s_mul_hi_u32 s17, s18, s74
	s_add_i32 s16, s17, s16
	s_mul_i32 s17, s19, s74
	s_add_i32 s19, s16, s17
	s_mul_i32 s16, s22, s75
	s_mul_hi_u32 s17, s22, s74
	s_add_i32 s16, s17, s16
	s_mul_i32 s17, s23, s74
	s_add_i32 s23, s16, s17
	;; [unrolled: 5-line block ×3, first 2 shown]
	s_mul_i32 s16, s20, s74
	s_lshl_b64 s[16:17], s[16:17], 2
	s_add_u32 s16, s12, s16
	s_addc_u32 s17, s13, s17
	s_lshl_b64 s[12:13], s[70:71], 2
	s_mul_i32 s18, s18, s74
	s_add_u32 s8, s8, s12
	s_addc_u32 s9, s9, s13
	s_lshl_b64 s[12:13], s[18:19], 2
	s_mul_i32 s22, s22, s74
	s_add_u32 s20, s10, s12
	s_addc_u32 s21, s11, s13
	s_lshl_b64 s[10:11], s[22:23], 2
	s_add_u32 s12, s14, s10
	s_mul_hi_u32 s10, s39, s6
	s_addc_u32 s13, s15, s11
	s_add_i32 s10, s6, s10
	s_lshr_b32 s10, s10, s43
	s_mul_i32 s3, s10, s3
	s_sub_i32 s3, s6, s3
	s_mul_hi_u32 s6, s10, s38
	s_add_i32 s6, s10, s6
	s_lshr_b32 s6, s6, s42
	s_mul_i32 s2, s6, s2
	s_sub_i32 s2, s10, s2
	s_mul_hi_u32 s10, s6, s37
	;; [unrolled: 5-line block ×3, first 2 shown]
	s_add_i32 s6, s10, s6
	s_lshr_b32 s6, s6, s40
	s_mul_i32 s6, s6, s0
	s_sub_i32 s0, s10, s6
	v_mul_lo_u32 v3, v2, s51
	s_mul_i32 s0, s0, s72
	v_sub_u32_e32 v4, v25, v3
	v_mul_hi_u32 v3, v2, s54
	s_add_i32 s2, s2, s0
	v_add_u32_e32 v3, v2, v3
	v_lshrrev_b32_e32 v1, 1, v0
	s_lshl_b32 s14, s2, 7
	v_lshrrev_b32_e32 v6, s52, v3
	v_or_b32_e32 v24, s14, v1
	v_mul_lo_u32 v3, v6, s50
	v_sub_u32_e32 v7, v2, v3
	v_mul_hi_u32 v2, v24, s61
	v_add_u32_e32 v2, v24, v2
	v_lshrrev_b32_e32 v2, s59, v2
	v_mul_hi_u32 v5, v2, s60
	v_add_u32_e32 v5, v2, v5
	v_lshrrev_b32_e32 v5, s58, v5
	v_mul_lo_u32 v3, v2, s57
	v_mul_lo_u32 v8, v5, s56
	s_mul_i32 s1, s1, s73
	v_sub_u32_e32 v3, v24, v3
	v_sub_u32_e32 v8, v2, v8
	v_mul_lo_u32 v2, v7, s48
	s_add_i32 s3, s3, s1
	v_mad_u64_u32 v[18:19], s[0:1], v3, s49, v[2:3]
	v_mul_lo_u32 v2, v6, s46
	v_mad_u64_u32 v[20:21], s[0:1], v8, s47, v[2:3]
	v_subrev_u32_e32 v2, s25, v20
	v_subrev_u32_e32 v3, s44, v18
	v_mul_lo_u32 v8, v2, s29
	v_mul_lo_u32 v2, v4, s31
	v_mad_u64_u32 v[2:3], s[0:1], v3, s30, v[2:3]
	v_or_b32_e32 v3, 4, v23
	v_mul_lo_u32 v21, s66, v3
	v_mul_hi_u32 v3, v21, s55
	v_add_u32_e32 v3, v21, v3
	v_lshrrev_b32_e32 v9, s53, v3
	v_mul_hi_u32 v11, v9, s54
	v_add_u32_e32 v11, v9, v11
	v_mul_lo_u32 v5, v5, s28
	v_lshrrev_b32_e32 v27, s52, v11
	v_add3_u32 v8, v2, v5, v8
	v_mul_lo_u32 v3, v9, s51
	v_mul_lo_u32 v11, v27, s50
	s_lshl_b32 s10, s69, 2
	s_mov_b32 s11, 0x20000
	v_lshlrev_b32_e32 v2, 2, v8
	v_sub_u32_e32 v26, v21, v3
	v_sub_u32_e32 v28, v9, v11
	;; [unrolled: 1-line block ×3, first 2 shown]
	buffer_load_dwordx4 v[2:5], v2, s[8:11], 0 offen
	v_sub_u32_e32 v7, v28, v7
	v_sub_u32_e32 v6, v27, v6
	v_mul_lo_u32 v29, v7, s48
	v_mul_lo_u32 v30, v6, s46
	;; [unrolled: 1-line block ×4, first 2 shown]
	v_mad_u64_u32 v[6:7], s[0:1], v30, s29, v[6:7]
	s_lshl_b32 s15, s3, 7
	v_add3_u32 v31, v6, v9, v8
	v_or_b32_e32 v19, s15, v1
	v_lshlrev_b32_e32 v6, 2, v31
	buffer_load_dwordx4 v[6:9], v6, s[8:11], 0 offen
	v_mul_lo_u32 v22, s65, v23
	v_mad_u64_u32 v[14:15], s[0:1], v19, s68, v[22:23]
	s_lshl_b32 s22, s7, 2
	s_mov_b32 s23, s11
	v_lshlrev_b32_e32 v10, 2, v14
	s_lshl_b32 s18, s65, 2
	buffer_load_dwordx4 v[10:13], v10, s[20:23], 0 offen
	v_add_u32_e32 v32, s18, v14
	v_lshlrev_b32_e32 v14, 2, v32
	buffer_load_dwordx4 v[14:17], v14, s[20:23], 0 offen
	s_load_dword s19, s[4:5], 0xf0
	s_load_dword s2, s[4:5], 0xe4
	s_sub_i32 s27, s27, s45
	v_cmp_gt_i32_e64 s[6:7], s27, v18
	s_sub_i32 s24, s24, s26
	s_waitcnt lgkmcnt(0)
	v_cmp_gt_i32_e64 s[0:1], s19, v25
	v_cmp_gt_i32_e32 vcc, s2, v24
	v_cmp_le_i32_e64 s[2:3], s44, v18
	s_and_b64 s[2:3], s[2:3], s[6:7]
	s_and_b64 s[6:7], s[0:1], s[2:3]
	v_cmp_le_i32_e64 s[0:1], s25, v20
	v_cmp_gt_i32_e64 s[2:3], s24, v20
	s_and_b64 s[0:1], s[0:1], s[2:3]
	s_and_b64 s[0:1], s[6:7], s[0:1]
	v_add_u32_e32 v18, v18, v29
	s_and_b64 s[0:1], vcc, s[0:1]
	v_cmp_le_i32_e64 s[2:3], s44, v18
	v_cmp_gt_i32_e64 s[6:7], s27, v18
	v_add_u32_e32 v20, v20, v30
	s_and_b64 s[2:3], s[2:3], s[6:7]
	v_lshlrev_b32_e32 v1, 2, v1
	v_lshl_or_b32 v68, v23, 9, v1
	v_or_b32_e32 v1, 16, v23
	v_mul_lo_u32 v1, s66, v1
	v_lshl_add_u32 v23, s66, 2, v1
	s_mul_i32 s65, s65, 12
	v_mov_b32_e32 v60, 0
	v_mov_b32_e32 v61, 0
	;; [unrolled: 1-line block ×26, first 2 shown]
	s_waitcnt vmcnt(3)
	v_cndmask_b32_e64 v5, 0, v5, s[0:1]
	v_cndmask_b32_e64 v4, 0, v4, s[0:1]
	;; [unrolled: 1-line block ×4, first 2 shown]
	v_cmp_gt_i32_e64 s[0:1], s19, v21
	s_and_b64 s[6:7], s[0:1], s[2:3]
	v_cmp_le_i32_e64 s[0:1], s25, v20
	v_cmp_gt_i32_e64 s[2:3], s24, v20
	s_and_b64 s[0:1], s[0:1], s[2:3]
	s_and_b64 s[0:1], s[6:7], s[0:1]
	s_and_b64 s[0:1], vcc, s[0:1]
	v_cmp_gt_i32_e64 s[2:3], s64, v22
	s_waitcnt vmcnt(2)
	v_cndmask_b32_e64 v9, 0, v9, s[0:1]
	v_cndmask_b32_e64 v8, 0, v8, s[0:1]
	;; [unrolled: 1-line block ×4, first 2 shown]
	v_cmp_gt_i32_e64 s[0:1], s67, v19
	s_and_b64 s[2:3], s[2:3], s[0:1]
	v_add_u32_e32 v19, s18, v22
	s_waitcnt vmcnt(1)
	v_cndmask_b32_e64 v13, 0, v13, s[2:3]
	v_cndmask_b32_e64 v12, 0, v12, s[2:3]
	;; [unrolled: 1-line block ×4, first 2 shown]
	v_cmp_gt_i32_e64 s[2:3], s64, v19
	s_and_b64 s[2:3], s[2:3], s[0:1]
	s_waitcnt vmcnt(0)
	v_cndmask_b32_e64 v17, 0, v17, s[2:3]
	v_cndmask_b32_e64 v16, 0, v16, s[2:3]
	;; [unrolled: 1-line block ×4, first 2 shown]
	ds_write2st64_b32 v68, v2, v3 offset1:2
	ds_write2st64_b32 v68, v4, v5 offset0:4 offset1:6
	ds_write2st64_b32 v68, v6, v7 offset0:8 offset1:10
	;; [unrolled: 1-line block ×7, first 2 shown]
	v_mul_hi_u32 v2, v1, s55
	v_add_u32_e32 v2, v1, v2
	v_lshrrev_b32_e32 v3, s53, v2
	v_mul_hi_u32 v5, v3, s54
	v_add_u32_e32 v5, v3, v5
	v_lshrrev_b32_e32 v10, s52, v5
	v_mul_lo_u32 v2, v3, s51
	v_mul_lo_u32 v5, v10, s50
	v_sub_u32_e32 v2, v1, v2
	v_sub_u32_e32 v6, v3, v5
	;; [unrolled: 1-line block ×5, first 2 shown]
	v_mul_lo_u32 v21, v3, s48
	v_mul_lo_u32 v22, v5, s46
	;; [unrolled: 1-line block ×4, first 2 shown]
	v_mad_u64_u32 v[4:5], s[2:3], v22, s29, v[4:5]
	v_add3_u32 v11, v4, v3, v31
	v_mul_hi_u32 v4, v23, s55
	v_add_u32_e32 v4, v23, v4
	v_lshrrev_b32_e32 v12, s53, v4
	v_lshlrev_b32_e32 v3, 2, v11
	v_mul_hi_u32 v7, v12, s54
	v_mad_u64_u32 v[8:9], s[2:3], v12, s51, v[2:3]
	v_add_u32_e32 v7, v12, v7
	v_lshrrev_b32_e32 v9, s52, v7
	v_mad_u64_u32 v[6:7], s[2:3], v9, s50, v[6:7]
	s_waitcnt lgkmcnt(0)
	s_barrier
	buffer_load_dwordx4 v[2:5], v3, s[8:11], 0 offen
	v_sub_u32_e32 v6, v12, v6
	v_sub_u32_e32 v7, v9, v10
	;; [unrolled: 1-line block ×3, first 2 shown]
	v_mul_lo_u32 v24, v6, s48
	v_mul_lo_u32 v25, v7, s46
	;; [unrolled: 1-line block ×5, first 2 shown]
	v_add3_u32 v6, v6, v8, v7
	v_add_lshl_u32 v6, v6, v11, 2
	buffer_load_dwordx4 v[6:9], v6, s[8:11], 0 offen
	v_add_u32_e32 v14, s65, v32
	v_lshlrev_b32_e32 v10, 2, v14
	buffer_load_dwordx4 v[10:13], v10, s[20:23], 0 offen
	v_add_lshl_u32 v14, v14, s18, 2
	buffer_load_dwordx4 v[14:17], v14, s[20:23], 0 offen
	v_lshrrev_b32_e32 v26, 5, v0
	v_lshlrev_b32_e32 v28, 1, v0
	v_lshlrev_b32_e32 v27, 6, v26
	v_and_b32_e32 v29, 0x1f8, v28
	v_sub_u32_e32 v27, v29, v27
	v_lshlrev_b32_e32 v0, 2, v0
	v_and_or_b32 v64, v0, 4, v27
	v_and_b32_e32 v0, 0x1fc, v28
	v_sub_u32_e32 v0, v0, v29
	v_lshl_add_u32 v65, v26, 3, v0
	v_add_u32_e32 v0, v18, v21
	v_cmp_le_i32_e64 s[6:7], s44, v0
	v_cmp_gt_i32_e64 s[8:9], s27, v0
	v_add_u32_e32 v18, v20, v22
	v_cmp_gt_i32_e64 s[2:3], s19, v1
	s_and_b64 s[6:7], s[6:7], s[8:9]
	s_and_b64 s[8:9], s[2:3], s[6:7]
	v_cmp_le_i32_e64 s[2:3], s25, v18
	v_cmp_gt_i32_e64 s[6:7], s24, v18
	s_and_b64 s[2:3], s[2:3], s[6:7]
	s_and_b64 s[2:3], s[8:9], s[2:3]
	v_add_u32_e32 v0, v0, v24
	s_and_b64 s[2:3], vcc, s[2:3]
	v_cmp_le_i32_e64 s[6:7], s44, v0
	v_cmp_gt_i32_e64 s[8:9], s27, v0
	v_add_u32_e32 v1, v18, v25
	s_and_b64 s[6:7], s[6:7], s[8:9]
	v_add_u32_e32 v19, s65, v19
	v_lshlrev_b32_e32 v66, 2, v65
	v_lshlrev_b32_e32 v67, 2, v64
	v_add_u32_e32 v0, s18, v19
	ds_read_b128 v[30:33], v66
	ds_read_b128 v[52:55], v67 offset:16384
	ds_read_b128 v[86:89], v67 offset:16640
	ds_read_b128 v[90:93], v66 offset:256
	v_mov_b32_e32 v18, 0
	v_mov_b32_e32 v24, 0
	;; [unrolled: 1-line block ×10, first 2 shown]
	v_add_u32_e32 v65, s14, v65
	v_add_u32_e32 v64, s15, v64
	s_lshl_b32 s18, s63, 2
	s_lshl_b32 s10, s35, 6
	v_or_b32_e32 v102, 2, v65
	v_or_b32_e32 v103, 3, v65
	v_add_u32_e32 v104, 64, v65
	s_mov_b32 s15, s11
	s_waitcnt vmcnt(3)
	v_cndmask_b32_e64 v69, 0, v5, s[2:3]
	v_cndmask_b32_e64 v70, 0, v4, s[2:3]
	;; [unrolled: 1-line block ×4, first 2 shown]
	v_cmp_gt_i32_e64 s[2:3], s19, v23
	s_and_b64 s[8:9], s[2:3], s[6:7]
	v_cmp_le_i32_e64 s[2:3], s25, v1
	v_cmp_gt_i32_e64 s[6:7], s24, v1
	s_and_b64 s[2:3], s[2:3], s[6:7]
	s_and_b64 s[2:3], s[8:9], s[2:3]
	s_and_b64 vcc, vcc, s[2:3]
	s_waitcnt vmcnt(2)
	v_cndmask_b32_e32 v73, 0, v9, vcc
	v_cndmask_b32_e32 v74, 0, v8, vcc
	;; [unrolled: 1-line block ×4, first 2 shown]
	v_cmp_gt_i32_e32 vcc, s64, v19
	s_and_b64 vcc, vcc, s[0:1]
	s_waitcnt vmcnt(1)
	v_cndmask_b32_e32 v77, 0, v13, vcc
	v_cndmask_b32_e32 v78, 0, v12, vcc
	;; [unrolled: 1-line block ×4, first 2 shown]
	v_cmp_gt_i32_e32 vcc, s64, v0
	s_and_b64 vcc, vcc, s[0:1]
	s_waitcnt vmcnt(0)
	v_cndmask_b32_e32 v81, 0, v17, vcc
	v_cndmask_b32_e32 v82, 0, v16, vcc
	;; [unrolled: 1-line block ×4, first 2 shown]
	v_mov_b32_e32 v0, 0
	v_mov_b32_e32 v1, 0
	;; [unrolled: 1-line block ×20, first 2 shown]
	s_waitcnt lgkmcnt(2)
	;;#ASMSTART
	
             v_fmac_f32 v0, v30, v52 
             
	;;#ASMEND
	;;#ASMSTART
	
             v_fmac_f32 v1, v30, v53 
             
	;;#ASMEND
	;; [unrolled: 5-line block ×16, first 2 shown]
	s_waitcnt lgkmcnt(1)
	;;#ASMSTART
	
             v_fmac_f32 v4, v30, v86 
             
	;;#ASMEND
	;;#ASMSTART
	
             v_fmac_f32 v5, v30, v87 
             
	;;#ASMEND
	;; [unrolled: 5-line block ×16, first 2 shown]
	v_mov_b32_e32 v30, 0
	v_mov_b32_e32 v31, 0
	v_mov_b32_e32 v32, 0
	v_mov_b32_e32 v33, 0
	ds_read_b128 v[94:97], v66 offset:512
	s_waitcnt lgkmcnt(1)
	;;#ASMSTART
	
             v_fmac_f32 v46, v90, v52 
             
	;;#ASMEND
	;;#ASMSTART
	
             v_fmac_f32 v47, v90, v53 
             
	;;#ASMEND
	;; [unrolled: 5-line block ×16, first 2 shown]
	v_mov_b32_e32 v52, 0
	v_mov_b32_e32 v53, 0
	;; [unrolled: 1-line block ×4, first 2 shown]
	ds_read_b128 v[98:101], v67 offset:16896
	;;#ASMSTART
	
             v_fmac_f32 v56, v90, v86 
             
	;;#ASMEND
	;;#ASMSTART
	
             v_fmac_f32 v57, v90, v87 
             
	;;#ASMEND
	;; [unrolled: 5-line block ×16, first 2 shown]
	ds_read_b128 v[86:89], v67 offset:17152
	ds_read_b128 v[90:93], v66 offset:768
	s_waitcnt lgkmcnt(2)
	;;#ASMSTART
	
             v_fmac_f32 v0, v94, v98 
             
	;;#ASMEND
	;;#ASMSTART
	
             v_fmac_f32 v1, v94, v99 
             
	;;#ASMEND
	;; [unrolled: 5-line block ×16, first 2 shown]
	s_waitcnt lgkmcnt(1)
	;;#ASMSTART
	
             v_fmac_f32 v4, v94, v86 
             
	;;#ASMEND
	;;#ASMSTART
	
             v_fmac_f32 v5, v94, v87 
             
	;;#ASMEND
	;; [unrolled: 5-line block ×16, first 2 shown]
	ds_read_b128 v[94:97], v66 offset:1024
	s_waitcnt lgkmcnt(1)
	;;#ASMSTART
	
             v_fmac_f32 v46, v90, v98 
             
	;;#ASMEND
	;;#ASMSTART
	
             v_fmac_f32 v47, v90, v99 
             
	;;#ASMEND
	;; [unrolled: 5-line block ×16, first 2 shown]
	ds_read_b128 v[98:101], v67 offset:17408
	;;#ASMSTART
	
             v_fmac_f32 v56, v90, v86 
             
	;;#ASMEND
	;;#ASMSTART
	
             v_fmac_f32 v57, v90, v87 
             
	;;#ASMEND
	;; [unrolled: 5-line block ×16, first 2 shown]
	ds_read_b128 v[86:89], v67 offset:17664
	ds_read_b128 v[90:93], v66 offset:1280
	s_waitcnt lgkmcnt(2)
	;;#ASMSTART
	
             v_fmac_f32 v0, v94, v98 
             
	;;#ASMEND
	;;#ASMSTART
	
             v_fmac_f32 v1, v94, v99 
             
	;;#ASMEND
	;; [unrolled: 5-line block ×16, first 2 shown]
	s_waitcnt lgkmcnt(1)
	;;#ASMSTART
	
             v_fmac_f32 v4, v94, v86 
             
	;;#ASMEND
	;;#ASMSTART
	
             v_fmac_f32 v5, v94, v87 
             
	;;#ASMEND
	;; [unrolled: 5-line block ×16, first 2 shown]
	ds_read_b128 v[94:97], v66 offset:1536
	s_waitcnt lgkmcnt(1)
	;;#ASMSTART
	
             v_fmac_f32 v46, v90, v98 
             
	;;#ASMEND
	;;#ASMSTART
	
             v_fmac_f32 v47, v90, v99 
             
	;;#ASMEND
	;;#ASMSTART
	
             v_fmac_f32 v50, v90, v100 
             
	;;#ASMEND
	;;#ASMSTART
	
             v_fmac_f32 v51, v90, v101 
             
	;;#ASMEND
	;;#ASMSTART
	
             v_fmac_f32 v40, v91, v98 
             
	;;#ASMEND
	;;#ASMSTART
	
             v_fmac_f32 v41, v91, v99 
             
	;;#ASMEND
	;;#ASMSTART
	
             v_fmac_f32 v42, v91, v100 
             
	;;#ASMEND
	;;#ASMSTART
	
             v_fmac_f32 v43, v91, v101 
             
	;;#ASMEND
	;;#ASMSTART
	
             v_fmac_f32 v34, v92, v98 
             
	;;#ASMEND
	;;#ASMSTART
	
             v_fmac_f32 v35, v92, v99 
             
	;;#ASMEND
	;;#ASMSTART
	
             v_fmac_f32 v36, v92, v100 
             
	;;#ASMEND
	;;#ASMSTART
	
             v_fmac_f32 v37, v92, v101 
             
	;;#ASMEND
	;;#ASMSTART
	
             v_fmac_f32 v30, v93, v98 
             
	;;#ASMEND
	;;#ASMSTART
	
             v_fmac_f32 v31, v93, v99 
             
	;;#ASMEND
	;;#ASMSTART
	
             v_fmac_f32 v32, v93, v100 
             
	;;#ASMEND
	;;#ASMSTART
	
             v_fmac_f32 v33, v93, v101 
             
	;;#ASMEND
	ds_read_b128 v[98:101], v67 offset:17920
	;;#ASMSTART
	
             v_fmac_f32 v56, v90, v86 
             
	;;#ASMEND
	;;#ASMSTART
	
             v_fmac_f32 v57, v90, v87 
             
	;;#ASMEND
	;; [unrolled: 5-line block ×16, first 2 shown]
	ds_read_b128 v[86:89], v67 offset:18176
	ds_read_b128 v[90:93], v66 offset:1792
	s_waitcnt lgkmcnt(2)
	;;#ASMSTART
	
             v_fmac_f32 v0, v94, v98 
             
	;;#ASMEND
	;;#ASMSTART
	
             v_fmac_f32 v1, v94, v99 
             
	;;#ASMEND
	;; [unrolled: 5-line block ×16, first 2 shown]
	s_waitcnt lgkmcnt(1)
	;;#ASMSTART
	
             v_fmac_f32 v4, v94, v86 
             
	;;#ASMEND
	;;#ASMSTART
	
             v_fmac_f32 v5, v94, v87 
             
	;;#ASMEND
	;; [unrolled: 5-line block ×16, first 2 shown]
	ds_read_b128 v[94:97], v66 offset:2048
	s_waitcnt lgkmcnt(1)
	;;#ASMSTART
	
             v_fmac_f32 v46, v90, v98 
             
	;;#ASMEND
	;;#ASMSTART
	
             v_fmac_f32 v47, v90, v99 
             
	;;#ASMEND
	;; [unrolled: 5-line block ×16, first 2 shown]
	ds_read_b128 v[98:101], v67 offset:18432
	;;#ASMSTART
	
             v_fmac_f32 v56, v90, v86 
             
	;;#ASMEND
	;;#ASMSTART
	
             v_fmac_f32 v57, v90, v87 
             
	;;#ASMEND
	;; [unrolled: 5-line block ×16, first 2 shown]
	ds_read_b128 v[86:89], v67 offset:18688
	ds_read_b128 v[90:93], v66 offset:2304
	s_waitcnt lgkmcnt(2)
	;;#ASMSTART
	
             v_fmac_f32 v0, v94, v98 
             
	;;#ASMEND
	;;#ASMSTART
	
             v_fmac_f32 v1, v94, v99 
             
	;;#ASMEND
	;; [unrolled: 5-line block ×16, first 2 shown]
	s_waitcnt lgkmcnt(1)
	;;#ASMSTART
	
             v_fmac_f32 v4, v94, v86 
             
	;;#ASMEND
	;;#ASMSTART
	
             v_fmac_f32 v5, v94, v87 
             
	;;#ASMEND
	;; [unrolled: 5-line block ×16, first 2 shown]
	ds_read_b128 v[94:97], v66 offset:2560
	s_waitcnt lgkmcnt(1)
	;;#ASMSTART
	
             v_fmac_f32 v46, v90, v98 
             
	;;#ASMEND
	;;#ASMSTART
	
             v_fmac_f32 v47, v90, v99 
             
	;;#ASMEND
	;;#ASMSTART
	
             v_fmac_f32 v50, v90, v100 
             
	;;#ASMEND
	;;#ASMSTART
	
             v_fmac_f32 v51, v90, v101 
             
	;;#ASMEND
	;;#ASMSTART
	
             v_fmac_f32 v40, v91, v98 
             
	;;#ASMEND
	;;#ASMSTART
	
             v_fmac_f32 v41, v91, v99 
             
	;;#ASMEND
	;;#ASMSTART
	
             v_fmac_f32 v42, v91, v100 
             
	;;#ASMEND
	;;#ASMSTART
	
             v_fmac_f32 v43, v91, v101 
             
	;;#ASMEND
	;;#ASMSTART
	
             v_fmac_f32 v34, v92, v98 
             
	;;#ASMEND
	;;#ASMSTART
	
             v_fmac_f32 v35, v92, v99 
             
	;;#ASMEND
	;;#ASMSTART
	
             v_fmac_f32 v36, v92, v100 
             
	;;#ASMEND
	;;#ASMSTART
	
             v_fmac_f32 v37, v92, v101 
             
	;;#ASMEND
	;;#ASMSTART
	
             v_fmac_f32 v30, v93, v98 
             
	;;#ASMEND
	;;#ASMSTART
	
             v_fmac_f32 v31, v93, v99 
             
	;;#ASMEND
	;;#ASMSTART
	
             v_fmac_f32 v32, v93, v100 
             
	;;#ASMEND
	;;#ASMSTART
	
             v_fmac_f32 v33, v93, v101 
             
	;;#ASMEND
	ds_read_b128 v[98:101], v67 offset:18944
	;;#ASMSTART
	
             v_fmac_f32 v56, v90, v86 
             
	;;#ASMEND
	;;#ASMSTART
	
             v_fmac_f32 v57, v90, v87 
             
	;;#ASMEND
	;; [unrolled: 5-line block ×16, first 2 shown]
	ds_read_b128 v[86:89], v67 offset:19200
	ds_read_b128 v[90:93], v66 offset:2816
	s_waitcnt lgkmcnt(2)
	;;#ASMSTART
	
             v_fmac_f32 v0, v94, v98 
             
	;;#ASMEND
	;;#ASMSTART
	
             v_fmac_f32 v1, v94, v99 
             
	;;#ASMEND
	;; [unrolled: 5-line block ×16, first 2 shown]
	s_waitcnt lgkmcnt(1)
	;;#ASMSTART
	
             v_fmac_f32 v4, v94, v86 
             
	;;#ASMEND
	;;#ASMSTART
	
             v_fmac_f32 v5, v94, v87 
             
	;;#ASMEND
	;; [unrolled: 5-line block ×16, first 2 shown]
	ds_read_b128 v[94:97], v66 offset:3072
	s_waitcnt lgkmcnt(1)
	;;#ASMSTART
	
             v_fmac_f32 v46, v90, v98 
             
	;;#ASMEND
	;;#ASMSTART
	
             v_fmac_f32 v47, v90, v99 
             
	;;#ASMEND
	;; [unrolled: 5-line block ×16, first 2 shown]
	ds_read_b128 v[98:101], v67 offset:19456
	;;#ASMSTART
	
             v_fmac_f32 v56, v90, v86 
             
	;;#ASMEND
	;;#ASMSTART
	
             v_fmac_f32 v57, v90, v87 
             
	;;#ASMEND
	;; [unrolled: 5-line block ×16, first 2 shown]
	ds_read_b128 v[86:89], v67 offset:19712
	ds_read_b128 v[90:93], v66 offset:3328
	s_waitcnt lgkmcnt(2)
	;;#ASMSTART
	
             v_fmac_f32 v0, v94, v98 
             
	;;#ASMEND
	;;#ASMSTART
	
             v_fmac_f32 v1, v94, v99 
             
	;;#ASMEND
	;; [unrolled: 5-line block ×16, first 2 shown]
	s_waitcnt lgkmcnt(1)
	;;#ASMSTART
	
             v_fmac_f32 v4, v94, v86 
             
	;;#ASMEND
	;;#ASMSTART
	
             v_fmac_f32 v5, v94, v87 
             
	;;#ASMEND
	;; [unrolled: 5-line block ×16, first 2 shown]
	ds_read_b128 v[94:97], v66 offset:3584
	s_waitcnt lgkmcnt(1)
	;;#ASMSTART
	
             v_fmac_f32 v46, v90, v98 
             
	;;#ASMEND
	;;#ASMSTART
	
             v_fmac_f32 v47, v90, v99 
             
	;;#ASMEND
	;; [unrolled: 5-line block ×16, first 2 shown]
	ds_read_b128 v[98:101], v67 offset:19968
	;;#ASMSTART
	
             v_fmac_f32 v56, v90, v86 
             
	;;#ASMEND
	;;#ASMSTART
	
             v_fmac_f32 v57, v90, v87 
             
	;;#ASMEND
	;; [unrolled: 5-line block ×16, first 2 shown]
	ds_read_b128 v[86:89], v67 offset:20224
	ds_read_b128 v[90:93], v66 offset:3840
	s_waitcnt lgkmcnt(2)
	;;#ASMSTART
	
             v_fmac_f32 v0, v94, v98 
             
	;;#ASMEND
	;;#ASMSTART
	
             v_fmac_f32 v1, v94, v99 
             
	;;#ASMEND
	;; [unrolled: 5-line block ×16, first 2 shown]
	s_waitcnt lgkmcnt(1)
	;;#ASMSTART
	
             v_fmac_f32 v4, v94, v86 
             
	;;#ASMEND
	;;#ASMSTART
	
             v_fmac_f32 v5, v94, v87 
             
	;;#ASMEND
	;; [unrolled: 5-line block ×16, first 2 shown]
	ds_read_b128 v[94:97], v66 offset:4096
	s_waitcnt lgkmcnt(1)
	;;#ASMSTART
	
             v_fmac_f32 v46, v90, v98 
             
	;;#ASMEND
	;;#ASMSTART
	
             v_fmac_f32 v47, v90, v99 
             
	;;#ASMEND
	;; [unrolled: 5-line block ×16, first 2 shown]
	ds_read_b128 v[98:101], v67 offset:20480
	;;#ASMSTART
	
             v_fmac_f32 v56, v90, v86 
             
	;;#ASMEND
	;;#ASMSTART
	
             v_fmac_f32 v57, v90, v87 
             
	;;#ASMEND
	;; [unrolled: 5-line block ×16, first 2 shown]
	ds_read_b128 v[86:89], v67 offset:20736
	ds_read_b128 v[90:93], v66 offset:4352
	s_waitcnt lgkmcnt(2)
	;;#ASMSTART
	
             v_fmac_f32 v0, v94, v98 
             
	;;#ASMEND
	;;#ASMSTART
	
             v_fmac_f32 v1, v94, v99 
             
	;;#ASMEND
	;; [unrolled: 5-line block ×16, first 2 shown]
	s_waitcnt lgkmcnt(1)
	;;#ASMSTART
	
             v_fmac_f32 v4, v94, v86 
             
	;;#ASMEND
	;;#ASMSTART
	
             v_fmac_f32 v5, v94, v87 
             
	;;#ASMEND
	;; [unrolled: 5-line block ×16, first 2 shown]
	ds_read_b128 v[94:97], v66 offset:4608
	s_waitcnt lgkmcnt(1)
	;;#ASMSTART
	
             v_fmac_f32 v46, v90, v98 
             
	;;#ASMEND
	;;#ASMSTART
	
             v_fmac_f32 v47, v90, v99 
             
	;;#ASMEND
	;; [unrolled: 5-line block ×16, first 2 shown]
	ds_read_b128 v[98:101], v67 offset:20992
	;;#ASMSTART
	
             v_fmac_f32 v56, v90, v86 
             
	;;#ASMEND
	;;#ASMSTART
	
             v_fmac_f32 v57, v90, v87 
             
	;;#ASMEND
	;; [unrolled: 5-line block ×16, first 2 shown]
	ds_read_b128 v[86:89], v67 offset:21248
	ds_read_b128 v[90:93], v66 offset:4864
	s_waitcnt lgkmcnt(2)
	;;#ASMSTART
	
             v_fmac_f32 v0, v94, v98 
             
	;;#ASMEND
	;;#ASMSTART
	
             v_fmac_f32 v1, v94, v99 
             
	;;#ASMEND
	;; [unrolled: 5-line block ×16, first 2 shown]
	s_waitcnt lgkmcnt(1)
	;;#ASMSTART
	
             v_fmac_f32 v4, v94, v86 
             
	;;#ASMEND
	;;#ASMSTART
	
             v_fmac_f32 v5, v94, v87 
             
	;;#ASMEND
	;; [unrolled: 5-line block ×16, first 2 shown]
	ds_read_b128 v[94:97], v66 offset:5120
	s_waitcnt lgkmcnt(1)
	;;#ASMSTART
	
             v_fmac_f32 v46, v90, v98 
             
	;;#ASMEND
	;;#ASMSTART
	
             v_fmac_f32 v47, v90, v99 
             
	;;#ASMEND
	;; [unrolled: 5-line block ×16, first 2 shown]
	ds_read_b128 v[98:101], v67 offset:21504
	;;#ASMSTART
	
             v_fmac_f32 v56, v90, v86 
             
	;;#ASMEND
	;;#ASMSTART
	
             v_fmac_f32 v57, v90, v87 
             
	;;#ASMEND
	;; [unrolled: 5-line block ×16, first 2 shown]
	ds_read_b128 v[86:89], v67 offset:21760
	ds_read_b128 v[90:93], v66 offset:5376
	s_waitcnt lgkmcnt(2)
	;;#ASMSTART
	
             v_fmac_f32 v0, v94, v98 
             
	;;#ASMEND
	;;#ASMSTART
	
             v_fmac_f32 v1, v94, v99 
             
	;;#ASMEND
	;; [unrolled: 5-line block ×16, first 2 shown]
	s_waitcnt lgkmcnt(1)
	;;#ASMSTART
	
             v_fmac_f32 v4, v94, v86 
             
	;;#ASMEND
	;;#ASMSTART
	
             v_fmac_f32 v5, v94, v87 
             
	;;#ASMEND
	;; [unrolled: 5-line block ×16, first 2 shown]
	ds_read_b128 v[94:97], v66 offset:5632
	s_waitcnt lgkmcnt(1)
	;;#ASMSTART
	
             v_fmac_f32 v46, v90, v98 
             
	;;#ASMEND
	;;#ASMSTART
	
             v_fmac_f32 v47, v90, v99 
             
	;;#ASMEND
	;; [unrolled: 5-line block ×16, first 2 shown]
	ds_read_b128 v[98:101], v67 offset:22016
	;;#ASMSTART
	
             v_fmac_f32 v56, v90, v86 
             
	;;#ASMEND
	;;#ASMSTART
	
             v_fmac_f32 v57, v90, v87 
             
	;;#ASMEND
	;; [unrolled: 5-line block ×16, first 2 shown]
	ds_read_b128 v[86:89], v67 offset:22272
	ds_read_b128 v[90:93], v66 offset:5888
	s_waitcnt lgkmcnt(2)
	;;#ASMSTART
	
             v_fmac_f32 v0, v94, v98 
             
	;;#ASMEND
	;;#ASMSTART
	
             v_fmac_f32 v1, v94, v99 
             
	;;#ASMEND
	;; [unrolled: 5-line block ×16, first 2 shown]
	s_waitcnt lgkmcnt(1)
	;;#ASMSTART
	
             v_fmac_f32 v4, v94, v86 
             
	;;#ASMEND
	;;#ASMSTART
	
             v_fmac_f32 v5, v94, v87 
             
	;;#ASMEND
	;; [unrolled: 5-line block ×16, first 2 shown]
	ds_read_b128 v[94:97], v66 offset:6144
	s_waitcnt lgkmcnt(1)
	;;#ASMSTART
	
             v_fmac_f32 v46, v90, v98 
             
	;;#ASMEND
	;;#ASMSTART
	
             v_fmac_f32 v47, v90, v99 
             
	;;#ASMEND
	;; [unrolled: 5-line block ×16, first 2 shown]
	ds_read_b128 v[98:101], v67 offset:22528
	;;#ASMSTART
	
             v_fmac_f32 v56, v90, v86 
             
	;;#ASMEND
	;;#ASMSTART
	
             v_fmac_f32 v57, v90, v87 
             
	;;#ASMEND
	;; [unrolled: 5-line block ×16, first 2 shown]
	ds_read_b128 v[86:89], v67 offset:22784
	ds_read_b128 v[90:93], v66 offset:6400
	s_waitcnt lgkmcnt(2)
	;;#ASMSTART
	
             v_fmac_f32 v0, v94, v98 
             
	;;#ASMEND
	;;#ASMSTART
	
             v_fmac_f32 v1, v94, v99 
             
	;;#ASMEND
	;; [unrolled: 5-line block ×16, first 2 shown]
	s_waitcnt lgkmcnt(1)
	;;#ASMSTART
	
             v_fmac_f32 v4, v94, v86 
             
	;;#ASMEND
	;;#ASMSTART
	
             v_fmac_f32 v5, v94, v87 
             
	;;#ASMEND
	;; [unrolled: 5-line block ×16, first 2 shown]
	ds_read_b128 v[94:97], v66 offset:6656
	s_waitcnt lgkmcnt(1)
	;;#ASMSTART
	
             v_fmac_f32 v46, v90, v98 
             
	;;#ASMEND
	;;#ASMSTART
	
             v_fmac_f32 v47, v90, v99 
             
	;;#ASMEND
	;; [unrolled: 5-line block ×16, first 2 shown]
	ds_read_b128 v[98:101], v67 offset:23040
	;;#ASMSTART
	
             v_fmac_f32 v56, v90, v86 
             
	;;#ASMEND
	;;#ASMSTART
	
             v_fmac_f32 v57, v90, v87 
             
	;;#ASMEND
	;; [unrolled: 5-line block ×16, first 2 shown]
	ds_read_b128 v[86:89], v67 offset:23296
	ds_read_b128 v[90:93], v66 offset:6912
	s_waitcnt lgkmcnt(2)
	;;#ASMSTART
	
             v_fmac_f32 v0, v94, v98 
             
	;;#ASMEND
	;;#ASMSTART
	
             v_fmac_f32 v1, v94, v99 
             
	;;#ASMEND
	;; [unrolled: 5-line block ×16, first 2 shown]
	s_waitcnt lgkmcnt(1)
	;;#ASMSTART
	
             v_fmac_f32 v4, v94, v86 
             
	;;#ASMEND
	;;#ASMSTART
	
             v_fmac_f32 v5, v94, v87 
             
	;;#ASMEND
	;; [unrolled: 5-line block ×16, first 2 shown]
	ds_read_b128 v[94:97], v66 offset:7168
	s_waitcnt lgkmcnt(1)
	;;#ASMSTART
	
             v_fmac_f32 v46, v90, v98 
             
	;;#ASMEND
	;;#ASMSTART
	
             v_fmac_f32 v47, v90, v99 
             
	;;#ASMEND
	;; [unrolled: 5-line block ×16, first 2 shown]
	ds_read_b128 v[98:101], v67 offset:23552
	;;#ASMSTART
	
             v_fmac_f32 v56, v90, v86 
             
	;;#ASMEND
	;;#ASMSTART
	
             v_fmac_f32 v57, v90, v87 
             
	;;#ASMEND
	;; [unrolled: 5-line block ×16, first 2 shown]
	ds_read_b128 v[86:89], v67 offset:23808
	ds_read_b128 v[90:93], v66 offset:7424
	s_waitcnt lgkmcnt(2)
	;;#ASMSTART
	
             v_fmac_f32 v0, v94, v98 
             
	;;#ASMEND
	;;#ASMSTART
	
             v_fmac_f32 v1, v94, v99 
             
	;;#ASMEND
	;; [unrolled: 5-line block ×16, first 2 shown]
	s_waitcnt lgkmcnt(1)
	;;#ASMSTART
	
             v_fmac_f32 v4, v94, v86 
             
	;;#ASMEND
	;;#ASMSTART
	
             v_fmac_f32 v5, v94, v87 
             
	;;#ASMEND
	;; [unrolled: 5-line block ×16, first 2 shown]
	ds_read_b128 v[94:97], v66 offset:7680
	s_waitcnt lgkmcnt(1)
	;;#ASMSTART
	
             v_fmac_f32 v46, v90, v98 
             
	;;#ASMEND
	;;#ASMSTART
	
             v_fmac_f32 v47, v90, v99 
             
	;;#ASMEND
	;; [unrolled: 5-line block ×16, first 2 shown]
	ds_read_b128 v[98:101], v67 offset:24064
	;;#ASMSTART
	
             v_fmac_f32 v56, v90, v86 
             
	;;#ASMEND
	;;#ASMSTART
	
             v_fmac_f32 v57, v90, v87 
             
	;;#ASMEND
	;; [unrolled: 5-line block ×16, first 2 shown]
	ds_read_b128 v[86:89], v67 offset:24320
	ds_read_b128 v[90:93], v66 offset:7936
	s_waitcnt lgkmcnt(2)
	;;#ASMSTART
	
             v_fmac_f32 v0, v94, v98 
             
	;;#ASMEND
	;;#ASMSTART
	
             v_fmac_f32 v1, v94, v99 
             
	;;#ASMEND
	;; [unrolled: 5-line block ×16, first 2 shown]
	s_waitcnt lgkmcnt(1)
	;;#ASMSTART
	
             v_fmac_f32 v4, v94, v86 
             
	;;#ASMEND
	;;#ASMSTART
	
             v_fmac_f32 v5, v94, v87 
             
	;;#ASMEND
	;; [unrolled: 5-line block ×16, first 2 shown]
	s_waitcnt lgkmcnt(0)
	;;#ASMSTART
	
             v_fmac_f32 v46, v90, v98 
             
	;;#ASMEND
	;;#ASMSTART
	
             v_fmac_f32 v47, v90, v99 
             
	;;#ASMEND
	;; [unrolled: 5-line block ×32, first 2 shown]
	ds_write2st64_b32 v68, v72, v71 offset0:32 offset1:34
	ds_write2st64_b32 v68, v70, v69 offset0:36 offset1:38
	;; [unrolled: 1-line block ×8, first 2 shown]
	s_waitcnt lgkmcnt(0)
	s_barrier
	ds_read_b128 v[68:71], v66 offset:8192
	ds_read_b128 v[72:75], v67 offset:24576
	;; [unrolled: 1-line block ×4, first 2 shown]
	s_waitcnt lgkmcnt(2)
	;;#ASMSTART
	
             v_fmac_f32 v0, v68, v72 
             
	;;#ASMEND
	;;#ASMSTART
	
             v_fmac_f32 v1, v68, v73 
             
	;;#ASMEND
	;; [unrolled: 5-line block ×16, first 2 shown]
	s_waitcnt lgkmcnt(1)
	;;#ASMSTART
	
             v_fmac_f32 v4, v68, v76 
             
	;;#ASMEND
	;;#ASMSTART
	
             v_fmac_f32 v5, v68, v77 
             
	;;#ASMEND
	;; [unrolled: 5-line block ×16, first 2 shown]
	ds_read_b128 v[68:71], v66 offset:8704
	s_waitcnt lgkmcnt(1)
	;;#ASMSTART
	
             v_fmac_f32 v46, v80, v72 
             
	;;#ASMEND
	;;#ASMSTART
	
             v_fmac_f32 v47, v80, v73 
             
	;;#ASMEND
	;; [unrolled: 5-line block ×16, first 2 shown]
	ds_read_b128 v[72:75], v67 offset:25088
	;;#ASMSTART
	
             v_fmac_f32 v56, v80, v76 
             
	;;#ASMEND
	;;#ASMSTART
	
             v_fmac_f32 v57, v80, v77 
             
	;;#ASMEND
	;; [unrolled: 5-line block ×16, first 2 shown]
	ds_read_b128 v[76:79], v67 offset:25344
	ds_read_b128 v[80:83], v66 offset:8960
	s_waitcnt lgkmcnt(2)
	;;#ASMSTART
	
             v_fmac_f32 v0, v68, v72 
             
	;;#ASMEND
	;;#ASMSTART
	
             v_fmac_f32 v1, v68, v73 
             
	;;#ASMEND
	;; [unrolled: 5-line block ×16, first 2 shown]
	s_waitcnt lgkmcnt(1)
	;;#ASMSTART
	
             v_fmac_f32 v4, v68, v76 
             
	;;#ASMEND
	;;#ASMSTART
	
             v_fmac_f32 v5, v68, v77 
             
	;;#ASMEND
	;; [unrolled: 5-line block ×16, first 2 shown]
	ds_read_b128 v[68:71], v66 offset:9216
	s_waitcnt lgkmcnt(1)
	;;#ASMSTART
	
             v_fmac_f32 v46, v80, v72 
             
	;;#ASMEND
	;;#ASMSTART
	
             v_fmac_f32 v47, v80, v73 
             
	;;#ASMEND
	;; [unrolled: 5-line block ×16, first 2 shown]
	ds_read_b128 v[72:75], v67 offset:25600
	;;#ASMSTART
	
             v_fmac_f32 v56, v80, v76 
             
	;;#ASMEND
	;;#ASMSTART
	
             v_fmac_f32 v57, v80, v77 
             
	;;#ASMEND
	;; [unrolled: 5-line block ×16, first 2 shown]
	ds_read_b128 v[76:79], v67 offset:25856
	ds_read_b128 v[80:83], v66 offset:9472
	s_waitcnt lgkmcnt(2)
	;;#ASMSTART
	
             v_fmac_f32 v0, v68, v72 
             
	;;#ASMEND
	;;#ASMSTART
	
             v_fmac_f32 v1, v68, v73 
             
	;;#ASMEND
	;; [unrolled: 5-line block ×16, first 2 shown]
	s_waitcnt lgkmcnt(1)
	;;#ASMSTART
	
             v_fmac_f32 v4, v68, v76 
             
	;;#ASMEND
	;;#ASMSTART
	
             v_fmac_f32 v5, v68, v77 
             
	;;#ASMEND
	;; [unrolled: 5-line block ×16, first 2 shown]
	ds_read_b128 v[68:71], v66 offset:9728
	s_waitcnt lgkmcnt(1)
	;;#ASMSTART
	
             v_fmac_f32 v46, v80, v72 
             
	;;#ASMEND
	;;#ASMSTART
	
             v_fmac_f32 v47, v80, v73 
             
	;;#ASMEND
	;; [unrolled: 5-line block ×16, first 2 shown]
	ds_read_b128 v[72:75], v67 offset:26112
	;;#ASMSTART
	
             v_fmac_f32 v56, v80, v76 
             
	;;#ASMEND
	;;#ASMSTART
	
             v_fmac_f32 v57, v80, v77 
             
	;;#ASMEND
	;; [unrolled: 5-line block ×16, first 2 shown]
	ds_read_b128 v[76:79], v67 offset:26368
	ds_read_b128 v[80:83], v66 offset:9984
	s_waitcnt lgkmcnt(2)
	;;#ASMSTART
	
             v_fmac_f32 v0, v68, v72 
             
	;;#ASMEND
	;;#ASMSTART
	
             v_fmac_f32 v1, v68, v73 
             
	;;#ASMEND
	;; [unrolled: 5-line block ×16, first 2 shown]
	s_waitcnt lgkmcnt(1)
	;;#ASMSTART
	
             v_fmac_f32 v4, v68, v76 
             
	;;#ASMEND
	;;#ASMSTART
	
             v_fmac_f32 v5, v68, v77 
             
	;;#ASMEND
	;; [unrolled: 5-line block ×16, first 2 shown]
	ds_read_b128 v[68:71], v66 offset:10240
	s_waitcnt lgkmcnt(1)
	;;#ASMSTART
	
             v_fmac_f32 v46, v80, v72 
             
	;;#ASMEND
	;;#ASMSTART
	
             v_fmac_f32 v47, v80, v73 
             
	;;#ASMEND
	;; [unrolled: 5-line block ×16, first 2 shown]
	ds_read_b128 v[72:75], v67 offset:26624
	;;#ASMSTART
	
             v_fmac_f32 v56, v80, v76 
             
	;;#ASMEND
	;;#ASMSTART
	
             v_fmac_f32 v57, v80, v77 
             
	;;#ASMEND
	;; [unrolled: 5-line block ×16, first 2 shown]
	ds_read_b128 v[76:79], v67 offset:26880
	ds_read_b128 v[80:83], v66 offset:10496
	s_waitcnt lgkmcnt(2)
	;;#ASMSTART
	
             v_fmac_f32 v0, v68, v72 
             
	;;#ASMEND
	;;#ASMSTART
	
             v_fmac_f32 v1, v68, v73 
             
	;;#ASMEND
	;; [unrolled: 5-line block ×16, first 2 shown]
	s_waitcnt lgkmcnt(1)
	;;#ASMSTART
	
             v_fmac_f32 v4, v68, v76 
             
	;;#ASMEND
	;;#ASMSTART
	
             v_fmac_f32 v5, v68, v77 
             
	;;#ASMEND
	;; [unrolled: 5-line block ×16, first 2 shown]
	ds_read_b128 v[68:71], v66 offset:10752
	s_waitcnt lgkmcnt(1)
	;;#ASMSTART
	
             v_fmac_f32 v46, v80, v72 
             
	;;#ASMEND
	;;#ASMSTART
	
             v_fmac_f32 v47, v80, v73 
             
	;;#ASMEND
	;; [unrolled: 5-line block ×16, first 2 shown]
	ds_read_b128 v[72:75], v67 offset:27136
	;;#ASMSTART
	
             v_fmac_f32 v56, v80, v76 
             
	;;#ASMEND
	;;#ASMSTART
	
             v_fmac_f32 v57, v80, v77 
             
	;;#ASMEND
	;; [unrolled: 5-line block ×16, first 2 shown]
	ds_read_b128 v[76:79], v67 offset:27392
	ds_read_b128 v[80:83], v66 offset:11008
	s_waitcnt lgkmcnt(2)
	;;#ASMSTART
	
             v_fmac_f32 v0, v68, v72 
             
	;;#ASMEND
	;;#ASMSTART
	
             v_fmac_f32 v1, v68, v73 
             
	;;#ASMEND
	;; [unrolled: 5-line block ×16, first 2 shown]
	s_waitcnt lgkmcnt(1)
	;;#ASMSTART
	
             v_fmac_f32 v4, v68, v76 
             
	;;#ASMEND
	;;#ASMSTART
	
             v_fmac_f32 v5, v68, v77 
             
	;;#ASMEND
	;; [unrolled: 5-line block ×16, first 2 shown]
	ds_read_b128 v[68:71], v66 offset:11264
	s_waitcnt lgkmcnt(1)
	;;#ASMSTART
	
             v_fmac_f32 v46, v80, v72 
             
	;;#ASMEND
	;;#ASMSTART
	
             v_fmac_f32 v47, v80, v73 
             
	;;#ASMEND
	;; [unrolled: 5-line block ×16, first 2 shown]
	ds_read_b128 v[72:75], v67 offset:27648
	;;#ASMSTART
	
             v_fmac_f32 v56, v80, v76 
             
	;;#ASMEND
	;;#ASMSTART
	
             v_fmac_f32 v57, v80, v77 
             
	;;#ASMEND
	;; [unrolled: 5-line block ×16, first 2 shown]
	ds_read_b128 v[76:79], v67 offset:27904
	ds_read_b128 v[80:83], v66 offset:11520
	s_waitcnt lgkmcnt(2)
	;;#ASMSTART
	
             v_fmac_f32 v0, v68, v72 
             
	;;#ASMEND
	;;#ASMSTART
	
             v_fmac_f32 v1, v68, v73 
             
	;;#ASMEND
	;; [unrolled: 5-line block ×16, first 2 shown]
	s_waitcnt lgkmcnt(1)
	;;#ASMSTART
	
             v_fmac_f32 v4, v68, v76 
             
	;;#ASMEND
	;;#ASMSTART
	
             v_fmac_f32 v5, v68, v77 
             
	;;#ASMEND
	;; [unrolled: 5-line block ×16, first 2 shown]
	ds_read_b128 v[68:71], v66 offset:11776
	s_waitcnt lgkmcnt(1)
	;;#ASMSTART
	
             v_fmac_f32 v46, v80, v72 
             
	;;#ASMEND
	;;#ASMSTART
	
             v_fmac_f32 v47, v80, v73 
             
	;;#ASMEND
	;; [unrolled: 5-line block ×16, first 2 shown]
	ds_read_b128 v[72:75], v67 offset:28160
	;;#ASMSTART
	
             v_fmac_f32 v56, v80, v76 
             
	;;#ASMEND
	;;#ASMSTART
	
             v_fmac_f32 v57, v80, v77 
             
	;;#ASMEND
	;; [unrolled: 5-line block ×16, first 2 shown]
	ds_read_b128 v[76:79], v67 offset:28416
	ds_read_b128 v[80:83], v66 offset:12032
	s_waitcnt lgkmcnt(2)
	;;#ASMSTART
	
             v_fmac_f32 v0, v68, v72 
             
	;;#ASMEND
	;;#ASMSTART
	
             v_fmac_f32 v1, v68, v73 
             
	;;#ASMEND
	;;#ASMSTART
	
             v_fmac_f32 v2, v68, v74 
             
	;;#ASMEND
	;;#ASMSTART
	
             v_fmac_f32 v3, v68, v75 
             
	;;#ASMEND
	;;#ASMSTART
	
             v_fmac_f32 v8, v69, v72 
             
	;;#ASMEND
	;;#ASMSTART
	
             v_fmac_f32 v9, v69, v73 
             
	;;#ASMEND
	;;#ASMSTART
	
             v_fmac_f32 v10, v69, v74 
             
	;;#ASMEND
	;;#ASMSTART
	
             v_fmac_f32 v11, v69, v75 
             
	;;#ASMEND
	;;#ASMSTART
	
             v_fmac_f32 v18, v70, v72 
             
	;;#ASMEND
	;;#ASMSTART
	
             v_fmac_f32 v19, v70, v73 
             
	;;#ASMEND
	;;#ASMSTART
	
             v_fmac_f32 v16, v70, v74 
             
	;;#ASMEND
	;;#ASMSTART
	
             v_fmac_f32 v17, v70, v75 
             
	;;#ASMEND
	;;#ASMSTART
	
             v_fmac_f32 v24, v71, v72 
             
	;;#ASMEND
	;;#ASMSTART
	
             v_fmac_f32 v25, v71, v73 
             
	;;#ASMEND
	;;#ASMSTART
	
             v_fmac_f32 v26, v71, v74 
             
	;;#ASMEND
	;;#ASMSTART
	
             v_fmac_f32 v27, v71, v75 
             
	;;#ASMEND
	s_waitcnt lgkmcnt(1)
	;;#ASMSTART
	
             v_fmac_f32 v4, v68, v76 
             
	;;#ASMEND
	;;#ASMSTART
	
             v_fmac_f32 v5, v68, v77 
             
	;;#ASMEND
	;; [unrolled: 5-line block ×16, first 2 shown]
	ds_read_b128 v[68:71], v66 offset:12288
	s_waitcnt lgkmcnt(1)
	;;#ASMSTART
	
             v_fmac_f32 v46, v80, v72 
             
	;;#ASMEND
	;;#ASMSTART
	
             v_fmac_f32 v47, v80, v73 
             
	;;#ASMEND
	;; [unrolled: 5-line block ×16, first 2 shown]
	ds_read_b128 v[72:75], v67 offset:28672
	;;#ASMSTART
	
             v_fmac_f32 v56, v80, v76 
             
	;;#ASMEND
	;;#ASMSTART
	
             v_fmac_f32 v57, v80, v77 
             
	;;#ASMEND
	;; [unrolled: 5-line block ×16, first 2 shown]
	ds_read_b128 v[76:79], v67 offset:28928
	ds_read_b128 v[80:83], v66 offset:12544
	s_waitcnt lgkmcnt(2)
	;;#ASMSTART
	
             v_fmac_f32 v0, v68, v72 
             
	;;#ASMEND
	;;#ASMSTART
	
             v_fmac_f32 v1, v68, v73 
             
	;;#ASMEND
	;; [unrolled: 5-line block ×16, first 2 shown]
	s_waitcnt lgkmcnt(1)
	;;#ASMSTART
	
             v_fmac_f32 v4, v68, v76 
             
	;;#ASMEND
	;;#ASMSTART
	
             v_fmac_f32 v5, v68, v77 
             
	;;#ASMEND
	;; [unrolled: 5-line block ×16, first 2 shown]
	ds_read_b128 v[68:71], v66 offset:12800
	s_waitcnt lgkmcnt(1)
	;;#ASMSTART
	
             v_fmac_f32 v46, v80, v72 
             
	;;#ASMEND
	;;#ASMSTART
	
             v_fmac_f32 v47, v80, v73 
             
	;;#ASMEND
	;; [unrolled: 5-line block ×16, first 2 shown]
	ds_read_b128 v[72:75], v67 offset:29184
	;;#ASMSTART
	
             v_fmac_f32 v56, v80, v76 
             
	;;#ASMEND
	;;#ASMSTART
	
             v_fmac_f32 v57, v80, v77 
             
	;;#ASMEND
	;; [unrolled: 5-line block ×16, first 2 shown]
	ds_read_b128 v[76:79], v67 offset:29440
	ds_read_b128 v[80:83], v66 offset:13056
	s_waitcnt lgkmcnt(2)
	;;#ASMSTART
	
             v_fmac_f32 v0, v68, v72 
             
	;;#ASMEND
	;;#ASMSTART
	
             v_fmac_f32 v1, v68, v73 
             
	;;#ASMEND
	;; [unrolled: 5-line block ×16, first 2 shown]
	s_waitcnt lgkmcnt(1)
	;;#ASMSTART
	
             v_fmac_f32 v4, v68, v76 
             
	;;#ASMEND
	;;#ASMSTART
	
             v_fmac_f32 v5, v68, v77 
             
	;;#ASMEND
	;; [unrolled: 5-line block ×16, first 2 shown]
	ds_read_b128 v[68:71], v66 offset:13312
	s_waitcnt lgkmcnt(1)
	;;#ASMSTART
	
             v_fmac_f32 v46, v80, v72 
             
	;;#ASMEND
	;;#ASMSTART
	
             v_fmac_f32 v47, v80, v73 
             
	;;#ASMEND
	;; [unrolled: 5-line block ×16, first 2 shown]
	ds_read_b128 v[72:75], v67 offset:29696
	;;#ASMSTART
	
             v_fmac_f32 v56, v80, v76 
             
	;;#ASMEND
	;;#ASMSTART
	
             v_fmac_f32 v57, v80, v77 
             
	;;#ASMEND
	;; [unrolled: 5-line block ×16, first 2 shown]
	ds_read_b128 v[76:79], v67 offset:29952
	ds_read_b128 v[80:83], v66 offset:13568
	s_waitcnt lgkmcnt(2)
	;;#ASMSTART
	
             v_fmac_f32 v0, v68, v72 
             
	;;#ASMEND
	;;#ASMSTART
	
             v_fmac_f32 v1, v68, v73 
             
	;;#ASMEND
	;; [unrolled: 5-line block ×16, first 2 shown]
	s_waitcnt lgkmcnt(1)
	;;#ASMSTART
	
             v_fmac_f32 v4, v68, v76 
             
	;;#ASMEND
	;;#ASMSTART
	
             v_fmac_f32 v5, v68, v77 
             
	;;#ASMEND
	;; [unrolled: 5-line block ×16, first 2 shown]
	ds_read_b128 v[68:71], v66 offset:13824
	s_waitcnt lgkmcnt(1)
	;;#ASMSTART
	
             v_fmac_f32 v46, v80, v72 
             
	;;#ASMEND
	;;#ASMSTART
	
             v_fmac_f32 v47, v80, v73 
             
	;;#ASMEND
	;; [unrolled: 5-line block ×16, first 2 shown]
	ds_read_b128 v[72:75], v67 offset:30208
	;;#ASMSTART
	
             v_fmac_f32 v56, v80, v76 
             
	;;#ASMEND
	;;#ASMSTART
	
             v_fmac_f32 v57, v80, v77 
             
	;;#ASMEND
	;; [unrolled: 5-line block ×16, first 2 shown]
	ds_read_b128 v[76:79], v67 offset:30464
	ds_read_b128 v[80:83], v66 offset:14080
	s_waitcnt lgkmcnt(2)
	;;#ASMSTART
	
             v_fmac_f32 v0, v68, v72 
             
	;;#ASMEND
	;;#ASMSTART
	
             v_fmac_f32 v1, v68, v73 
             
	;;#ASMEND
	;; [unrolled: 5-line block ×16, first 2 shown]
	s_waitcnt lgkmcnt(1)
	;;#ASMSTART
	
             v_fmac_f32 v4, v68, v76 
             
	;;#ASMEND
	;;#ASMSTART
	
             v_fmac_f32 v5, v68, v77 
             
	;;#ASMEND
	;; [unrolled: 5-line block ×16, first 2 shown]
	ds_read_b128 v[68:71], v66 offset:14336
	s_waitcnt lgkmcnt(1)
	;;#ASMSTART
	
             v_fmac_f32 v46, v80, v72 
             
	;;#ASMEND
	;;#ASMSTART
	
             v_fmac_f32 v47, v80, v73 
             
	;;#ASMEND
	;; [unrolled: 5-line block ×16, first 2 shown]
	ds_read_b128 v[72:75], v67 offset:30720
	;;#ASMSTART
	
             v_fmac_f32 v56, v80, v76 
             
	;;#ASMEND
	;;#ASMSTART
	
             v_fmac_f32 v57, v80, v77 
             
	;;#ASMEND
	;; [unrolled: 5-line block ×16, first 2 shown]
	ds_read_b128 v[76:79], v67 offset:30976
	ds_read_b128 v[80:83], v66 offset:14592
	s_waitcnt lgkmcnt(2)
	;;#ASMSTART
	
             v_fmac_f32 v0, v68, v72 
             
	;;#ASMEND
	;;#ASMSTART
	
             v_fmac_f32 v1, v68, v73 
             
	;;#ASMEND
	;; [unrolled: 5-line block ×16, first 2 shown]
	s_waitcnt lgkmcnt(1)
	;;#ASMSTART
	
             v_fmac_f32 v4, v68, v76 
             
	;;#ASMEND
	;;#ASMSTART
	
             v_fmac_f32 v5, v68, v77 
             
	;;#ASMEND
	;; [unrolled: 5-line block ×16, first 2 shown]
	ds_read_b128 v[68:71], v66 offset:14848
	s_waitcnt lgkmcnt(1)
	;;#ASMSTART
	
             v_fmac_f32 v46, v80, v72 
             
	;;#ASMEND
	;;#ASMSTART
	
             v_fmac_f32 v47, v80, v73 
             
	;;#ASMEND
	;; [unrolled: 5-line block ×16, first 2 shown]
	ds_read_b128 v[72:75], v67 offset:31232
	;;#ASMSTART
	
             v_fmac_f32 v56, v80, v76 
             
	;;#ASMEND
	;;#ASMSTART
	
             v_fmac_f32 v57, v80, v77 
             
	;;#ASMEND
	;; [unrolled: 5-line block ×16, first 2 shown]
	ds_read_b128 v[76:79], v67 offset:31488
	ds_read_b128 v[80:83], v66 offset:15104
	s_waitcnt lgkmcnt(2)
	;;#ASMSTART
	
             v_fmac_f32 v0, v68, v72 
             
	;;#ASMEND
	;;#ASMSTART
	
             v_fmac_f32 v1, v68, v73 
             
	;;#ASMEND
	;; [unrolled: 5-line block ×16, first 2 shown]
	s_waitcnt lgkmcnt(1)
	;;#ASMSTART
	
             v_fmac_f32 v4, v68, v76 
             
	;;#ASMEND
	;;#ASMSTART
	
             v_fmac_f32 v5, v68, v77 
             
	;;#ASMEND
	;; [unrolled: 5-line block ×16, first 2 shown]
	ds_read_b128 v[68:71], v66 offset:15360
	s_waitcnt lgkmcnt(1)
	;;#ASMSTART
	
             v_fmac_f32 v46, v80, v72 
             
	;;#ASMEND
	;;#ASMSTART
	
             v_fmac_f32 v47, v80, v73 
             
	;;#ASMEND
	;; [unrolled: 5-line block ×16, first 2 shown]
	ds_read_b128 v[72:75], v67 offset:31744
	;;#ASMSTART
	
             v_fmac_f32 v56, v80, v76 
             
	;;#ASMEND
	;;#ASMSTART
	
             v_fmac_f32 v57, v80, v77 
             
	;;#ASMEND
	;; [unrolled: 5-line block ×16, first 2 shown]
	ds_read_b128 v[76:79], v67 offset:32000
	ds_read_b128 v[80:83], v66 offset:15616
	s_waitcnt lgkmcnt(2)
	;;#ASMSTART
	
             v_fmac_f32 v0, v68, v72 
             
	;;#ASMEND
	;;#ASMSTART
	
             v_fmac_f32 v1, v68, v73 
             
	;;#ASMEND
	;; [unrolled: 5-line block ×16, first 2 shown]
	s_waitcnt lgkmcnt(1)
	;;#ASMSTART
	
             v_fmac_f32 v4, v68, v76 
             
	;;#ASMEND
	;;#ASMSTART
	
             v_fmac_f32 v5, v68, v77 
             
	;;#ASMEND
	;; [unrolled: 5-line block ×16, first 2 shown]
	ds_read_b128 v[68:71], v66 offset:15872
	s_waitcnt lgkmcnt(1)
	;;#ASMSTART
	
             v_fmac_f32 v46, v80, v72 
             
	;;#ASMEND
	;;#ASMSTART
	
             v_fmac_f32 v47, v80, v73 
             
	;;#ASMEND
	;; [unrolled: 5-line block ×16, first 2 shown]
	ds_read_b128 v[72:75], v67 offset:32256
	;;#ASMSTART
	
             v_fmac_f32 v56, v80, v76 
             
	;;#ASMEND
	;;#ASMSTART
	
             v_fmac_f32 v57, v80, v77 
             
	;;#ASMEND
	;; [unrolled: 5-line block ×16, first 2 shown]
	ds_read_b128 v[76:79], v67 offset:32512
	ds_read_b128 v[80:83], v66 offset:16128
	v_mul_lo_u32 v66, v65, s34
	s_waitcnt lgkmcnt(2)
	;;#ASMSTART
	
             v_fmac_f32 v0, v68, v72 
             
	;;#ASMEND
	;;#ASMSTART
	
             v_fmac_f32 v1, v68, v73 
             
	;;#ASMEND
	;; [unrolled: 5-line block ×16, first 2 shown]
	s_waitcnt lgkmcnt(1)
	;;#ASMSTART
	
             v_fmac_f32 v4, v68, v76 
             
	;;#ASMEND
	;;#ASMSTART
	
             v_fmac_f32 v5, v68, v77 
             
	;;#ASMEND
	;; [unrolled: 5-line block ×16, first 2 shown]
	s_waitcnt lgkmcnt(0)
	;;#ASMSTART
	
             v_fmac_f32 v46, v80, v72 
             
	;;#ASMEND
	;;#ASMSTART
	
             v_fmac_f32 v47, v80, v73 
             
	;;#ASMEND
	;; [unrolled: 5-line block ×16, first 2 shown]
	v_mad_u64_u32 v[74:75], s[0:1], v64, s35, v[66:67]
	s_mov_b32 s19, s11
	v_lshlrev_b32_e32 v66, 2, v74
	;;#ASMSTART
	
             v_fmac_f32 v56, v80, v76 
             
	;;#ASMEND
	;;#ASMSTART
	
             v_fmac_f32 v57, v80, v77 
             
	;;#ASMEND
	;;#ASMSTART
	
             v_fmac_f32 v58, v80, v78 
             
	;;#ASMEND
	;;#ASMSTART
	
             v_fmac_f32 v59, v80, v79 
             
	;;#ASMEND
	;;#ASMSTART
	
             v_fmac_f32 v52, v81, v76 
             
	;;#ASMEND
	;;#ASMSTART
	
             v_fmac_f32 v53, v81, v77 
             
	;;#ASMEND
	;;#ASMSTART
	
             v_fmac_f32 v54, v81, v78 
             
	;;#ASMEND
	;;#ASMSTART
	
             v_fmac_f32 v55, v81, v79 
             
	;;#ASMEND
	;;#ASMSTART
	
             v_fmac_f32 v44, v82, v76 
             
	;;#ASMEND
	;;#ASMSTART
	
             v_fmac_f32 v45, v82, v77 
             
	;;#ASMEND
	;;#ASMSTART
	
             v_fmac_f32 v48, v82, v78 
             
	;;#ASMEND
	;;#ASMSTART
	
             v_fmac_f32 v49, v82, v79 
             
	;;#ASMEND
	;;#ASMSTART
	
             v_fmac_f32 v38, v83, v76 
             
	;;#ASMEND
	;;#ASMSTART
	
             v_fmac_f32 v39, v83, v77 
             
	;;#ASMEND
	;;#ASMSTART
	
             v_fmac_f32 v28, v83, v78 
             
	;;#ASMEND
	;;#ASMSTART
	
             v_fmac_f32 v29, v83, v79 
             
	;;#ASMEND
	buffer_load_dwordx4 v[66:69], v66, s[16:19], 0 offen
	v_add_lshl_u32 v70, v74, s10, 2
	buffer_load_dwordx4 v[70:73], v70, s[16:19], 0 offen
	v_add_u32_e32 v82, s34, v74
	v_lshlrev_b32_e32 v74, 2, v82
	buffer_load_dwordx4 v[74:77], v74, s[16:19], 0 offen
	v_add_lshl_u32 v78, v82, s10, 2
	buffer_load_dwordx4 v[78:81], v78, s[16:19], 0 offen
	v_add_u32_e32 v90, s34, v82
	v_lshlrev_b32_e32 v82, 2, v90
	buffer_load_dwordx4 v[82:85], v82, s[16:19], 0 offen
	v_cmp_gt_i32_e32 vcc, s62, v64
	v_cmp_gt_i32_e64 s[2:3], s33, v65
	v_add_lshl_u32 v86, v90, s10, 2
	buffer_load_dwordx4 v[86:89], v86, s[16:19], 0 offen
	s_and_b64 s[0:1], s[2:3], vcc
	v_add_u32_e32 v100, 64, v64
	v_add_u32_e32 v90, s34, v90
	v_or_b32_e32 v101, 1, v65
	s_load_dwordx2 s[6:7], s[4:5], 0x1e8
	s_load_dword s8, s[4:5], 0x1f4
	s_load_dword s9, s[4:5], 0x200
	;; [unrolled: 1-line block ×3, first 2 shown]
	s_waitcnt lgkmcnt(0)
	s_lshl_b32 s14, s14, 2
	s_waitcnt vmcnt(5)
	v_cndmask_b32_e64 v69, 0, v69, s[0:1]
	v_cndmask_b32_e64 v68, 0, v68, s[0:1]
	;; [unrolled: 1-line block ×4, first 2 shown]
	v_cmp_gt_i32_e64 s[0:1], s62, v100
	v_pk_add_f32 v[0:1], v[0:1], v[66:67]
	v_lshlrev_b32_e32 v66, 2, v90
	s_and_b64 s[2:3], s[2:3], s[0:1]
	v_pk_add_f32 v[2:3], v[2:3], v[68:69]
	buffer_load_dwordx4 v[66:69], v66, s[16:19], 0 offen
	s_waitcnt vmcnt(5)
	v_cndmask_b32_e64 v73, 0, v73, s[2:3]
	v_cndmask_b32_e64 v72, 0, v72, s[2:3]
	;; [unrolled: 1-line block ×4, first 2 shown]
	v_cmp_gt_i32_e64 s[2:3], s33, v101
	v_pk_add_f32 v[4:5], v[4:5], v[70:71]
	v_add_lshl_u32 v70, v90, s10, 2
	s_and_b64 s[4:5], s[2:3], vcc
	v_pk_add_f32 v[6:7], v[6:7], v[72:73]
	buffer_load_dwordx4 v[70:73], v70, s[16:19], 0 offen
	s_waitcnt vmcnt(5)
	v_cndmask_b32_e64 v77, 0, v77, s[4:5]
	v_cndmask_b32_e64 v76, 0, v76, s[4:5]
	;; [unrolled: 1-line block ×4, first 2 shown]
	v_mad_u64_u32 v[90:91], s[4:5], s34, 61, v[90:91]
	v_pk_add_f32 v[8:9], v[8:9], v[74:75]
	v_lshlrev_b32_e32 v74, 2, v90
	v_pk_add_f32 v[10:11], v[10:11], v[76:77]
	buffer_load_dwordx4 v[74:77], v74, s[16:19], 0 offen
	s_and_b64 s[2:3], s[2:3], s[0:1]
	s_waitcnt vmcnt(5)
	v_cndmask_b32_e64 v79, 0, v79, s[2:3]
	v_cndmask_b32_e64 v78, 0, v78, s[2:3]
	;; [unrolled: 1-line block ×4, first 2 shown]
	v_pk_add_f32 v[12:13], v[12:13], v[78:79]
	v_add_lshl_u32 v78, v90, s10, 2
	v_cmp_gt_i32_e64 s[2:3], s33, v102
	v_pk_add_f32 v[14:15], v[14:15], v[80:81]
	buffer_load_dwordx4 v[78:81], v78, s[16:19], 0 offen
	s_and_b64 s[4:5], s[2:3], vcc
	s_waitcnt vmcnt(5)
	v_cndmask_b32_e64 v83, 0, v83, s[4:5]
	v_cndmask_b32_e64 v82, 0, v82, s[4:5]
	v_add_u32_e32 v96, s34, v90
	v_cndmask_b32_e64 v93, 0, v85, s[4:5]
	v_cndmask_b32_e64 v92, 0, v84, s[4:5]
	v_pk_add_f32 v[94:95], v[18:19], v[82:83]
	v_lshlrev_b32_e32 v18, 2, v96
	s_and_b64 s[2:3], s[2:3], s[0:1]
	buffer_load_dwordx4 v[82:85], v18, s[16:19], 0 offen
	v_pk_add_f32 v[16:17], v[16:17], v[92:93]
	s_waitcnt vmcnt(5)
	v_cndmask_b32_e64 v93, 0, v89, s[2:3]
	v_cndmask_b32_e64 v92, 0, v88, s[2:3]
	;; [unrolled: 1-line block ×3, first 2 shown]
	v_add_lshl_u32 v88, v96, s10, 2
	v_cndmask_b32_e64 v86, 0, v86, s[2:3]
	v_cmp_gt_i32_e64 s[2:3], s33, v103
	buffer_load_dwordx4 v[88:91], v88, s[16:19], 0 offen
	v_pk_add_f32 v[20:21], v[20:21], v[86:87]
	v_add_u32_e32 v86, s34, v96
	s_and_b64 s[4:5], s[2:3], vcc
	v_lshlrev_b32_e32 v87, 2, v86
	v_max_f32_e32 v19, 0, v17
	v_max_f32_e32 v18, 0, v16
	;; [unrolled: 1-line block ×4, first 2 shown]
	v_pk_add_f32 v[22:23], v[22:23], v[92:93]
	buffer_load_dwordx4 v[92:95], v87, s[16:19], 0 offen
	s_and_b64 s[2:3], s[2:3], s[0:1]
	v_add_u32_e32 v98, s34, v86
	v_max_f32_e32 v3, 0, v3
	v_max_f32_e32 v2, 0, v2
	;; [unrolled: 1-line block ×19, first 2 shown]
	s_waitcnt vmcnt(6)
	v_cndmask_b32_e64 v67, 0, v67, s[4:5]
	v_cndmask_b32_e64 v66, 0, v66, s[4:5]
	;; [unrolled: 1-line block ×4, first 2 shown]
	v_pk_add_f32 v[24:25], v[24:25], v[66:67]
	v_add_lshl_u32 v66, v86, s10, 2
	v_pk_add_f32 v[26:27], v[26:27], v[68:69]
	buffer_load_dwordx4 v[66:69], v66, s[16:19], 0 offen
	v_max_f32_e32 v20, 0, v20
	v_max_f32_e32 v27, 0, v27
	s_waitcnt vmcnt(6)
	v_cndmask_b32_e64 v73, 0, v73, s[2:3]
	v_cndmask_b32_e64 v72, 0, v72, s[2:3]
	;; [unrolled: 1-line block ×4, first 2 shown]
	v_cmp_gt_i32_e64 s[2:3], s33, v104
	v_pk_add_f32 v[60:61], v[60:61], v[70:71]
	v_lshlrev_b32_e32 v70, 2, v98
	s_and_b64 s[4:5], s[2:3], vcc
	v_pk_add_f32 v[62:63], v[62:63], v[72:73]
	buffer_load_dwordx4 v[70:73], v70, s[16:19], 0 offen
	s_waitcnt vmcnt(6)
	v_cndmask_b32_e64 v96, 0, v74, s[4:5]
	v_add_lshl_u32 v74, v98, s10, 2
	v_cndmask_b32_e64 v87, 0, v77, s[4:5]
	v_cndmask_b32_e64 v86, 0, v76, s[4:5]
	;; [unrolled: 1-line block ×3, first 2 shown]
	buffer_load_dwordx4 v[74:77], v74, s[16:19], 0 offen
	v_pk_add_f32 v[50:51], v[50:51], v[86:87]
	s_and_b64 s[2:3], s[2:3], s[0:1]
	v_pk_add_f32 v[46:47], v[46:47], v[96:97]
	v_max_f32_e32 v98, 0, v50
	s_waitcnt vmcnt(6)
	v_cndmask_b32_e64 v50, 0, v78, s[2:3]
	v_add_u32_e32 v78, 0x41, v65
	v_max_f32_e32 v99, 0, v51
	v_max_f32_e32 v97, 0, v47
	;; [unrolled: 1-line block ×3, first 2 shown]
	v_cndmask_b32_e64 v47, 0, v81, s[2:3]
	v_cndmask_b32_e64 v46, 0, v80, s[2:3]
	;; [unrolled: 1-line block ×3, first 2 shown]
	v_cmp_gt_i32_e64 s[2:3], s33, v78
	v_pk_add_f32 v[50:51], v[56:57], v[50:51]
	v_pk_add_f32 v[46:47], v[58:59], v[46:47]
	s_and_b64 s[4:5], s[2:3], vcc
	v_max_f32_e32 v59, 0, v47
	v_max_f32_e32 v58, 0, v46
	;; [unrolled: 1-line block ×4, first 2 shown]
	s_waitcnt vmcnt(5)
	v_cndmask_b32_e64 v47, 0, v85, s[4:5]
	v_cndmask_b32_e64 v46, 0, v84, s[4:5]
	;; [unrolled: 1-line block ×4, first 2 shown]
	s_and_b64 s[2:3], s[2:3], s[0:1]
	v_add_u32_e32 v79, 0x42, v65
	v_pk_add_f32 v[40:41], v[40:41], v[50:51]
	v_pk_add_f32 v[42:43], v[42:43], v[46:47]
	s_waitcnt vmcnt(4)
	v_cndmask_b32_e64 v47, 0, v91, s[2:3]
	v_cndmask_b32_e64 v46, 0, v90, s[2:3]
	;; [unrolled: 1-line block ×4, first 2 shown]
	v_cmp_gt_i32_e64 s[2:3], s33, v79
	v_pk_add_f32 v[46:47], v[54:55], v[46:47]
	s_and_b64 s[4:5], s[2:3], vcc
	v_pk_add_f32 v[50:51], v[52:53], v[50:51]
	v_max_f32_e32 v53, 0, v47
	v_max_f32_e32 v52, 0, v46
	s_waitcnt vmcnt(3)
	v_cndmask_b32_e64 v47, 0, v95, s[4:5]
	v_cndmask_b32_e64 v46, 0, v94, s[4:5]
	;; [unrolled: 1-line block ×4, first 2 shown]
	s_and_b64 s[2:3], s[2:3], s[0:1]
	v_add_u32_e32 v80, 0x43, v65
	v_pk_add_f32 v[34:35], v[34:35], v[54:55]
	v_pk_add_f32 v[36:37], v[36:37], v[46:47]
	s_lshl_b32 s10, s7, 6
	v_max_f32_e32 v63, 0, v63
	v_max_f32_e32 v62, 0, v62
	;; [unrolled: 1-line block ×14, first 2 shown]
	s_waitcnt vmcnt(2)
	v_cndmask_b32_e64 v47, 0, v69, s[2:3]
	v_cndmask_b32_e64 v46, 0, v68, s[2:3]
	;; [unrolled: 1-line block ×4, first 2 shown]
	v_cmp_gt_i32_e64 s[2:3], s33, v80
	s_and_b64 vcc, s[2:3], vcc
	v_pk_add_f32 v[44:45], v[44:45], v[54:55]
	v_pk_add_f32 v[46:47], v[48:49], v[46:47]
	v_max_f32_e32 v47, 0, v47
	v_max_f32_e32 v46, 0, v46
	;; [unrolled: 1-line block ×4, first 2 shown]
	s_waitcnt vmcnt(1)
	v_cndmask_b32_e32 v49, 0, v73, vcc
	v_cndmask_b32_e32 v48, 0, v72, vcc
	v_cndmask_b32_e32 v55, 0, v71, vcc
	v_cndmask_b32_e32 v54, 0, v70, vcc
	s_and_b64 vcc, s[2:3], s[0:1]
	v_pk_add_f32 v[32:33], v[32:33], v[48:49]
	s_waitcnt vmcnt(0)
	v_cndmask_b32_e32 v49, 0, v77, vcc
	v_cndmask_b32_e32 v48, 0, v76, vcc
	v_pk_add_f32 v[28:29], v[28:29], v[48:49]
	v_max_f32_e32 v68, 0, v28
	v_mul_lo_u32 v28, v65, s6
	v_max_f32_e32 v69, 0, v29
	v_mad_u64_u32 v[28:29], s[0:1], v64, s7, v[28:29]
	v_pk_add_f32 v[30:31], v[30:31], v[54:55]
	v_cndmask_b32_e32 v55, 0, v75, vcc
	v_cndmask_b32_e32 v54, 0, v74, vcc
	v_cmp_gt_i32_e32 vcc, s9, v64
	v_cmp_gt_i32_e64 s[0:1], s8, v65
	v_pk_add_f32 v[38:39], v[38:39], v[54:55]
	v_bfrev_b32_e32 v29, 1
	s_and_b64 s[2:3], s[0:1], vcc
	v_max_f32_e32 v66, 0, v38
	v_cndmask_b32_e64 v38, v29, 0, s[2:3]
	v_cmp_gt_i32_e64 s[2:3], s9, v100
	v_lshl_add_u32 v38, v28, 2, v38
	s_and_b64 s[0:1], s[0:1], s[2:3]
	buffer_store_dwordx4 v[0:3], v38, s[12:15], 0 offen
	s_lshl_b32 s9, s6, 8
	v_add_u32_e32 v0, s10, v28
	v_cndmask_b32_e64 v1, v29, 0, s[0:1]
	v_cmp_gt_i32_e64 s[0:1], s8, v101
	v_lshl_add_u32 v1, v0, 2, v1
	s_and_b64 s[4:5], s[0:1], s[2:3]
	buffer_store_dwordx4 v[4:7], v1, s[12:15], 0 offen
	v_add_u32_e32 v0, s6, v0
	v_cndmask_b32_e64 v1, v29, 0, s[4:5]
	v_lshl_add_u32 v1, v0, 2, v1
	s_and_b64 s[0:1], s[0:1], vcc
	buffer_store_dwordx4 v[12:15], v1, s[12:15], 0 offen
	v_add_u32_e32 v1, s6, v28
	v_cndmask_b32_e64 v2, v29, 0, s[0:1]
	v_cmp_gt_i32_e64 s[0:1], s8, v102
	v_lshl_add_u32 v2, v1, 2, v2
	s_and_b64 s[4:5], s[0:1], vcc
	buffer_store_dwordx4 v[8:11], v2, s[12:15], 0 offen
	v_add_u32_e32 v1, s6, v1
	v_cndmask_b32_e64 v2, v29, 0, s[4:5]
	v_lshl_add_u32 v1, v1, 2, v2
	s_and_b64 s[0:1], s[0:1], s[2:3]
	buffer_store_dwordx4 v[16:19], v1, s[12:15], 0 offen
	v_add_u32_e32 v0, s6, v0
	v_cndmask_b32_e64 v1, v29, 0, s[0:1]
	v_cmp_gt_i32_e64 s[0:1], s8, v103
	v_lshl_add_u32 v1, v0, 2, v1
	s_and_b64 s[4:5], s[0:1], s[2:3]
	buffer_store_dwordx4 v[20:23], v1, s[12:15], 0 offen
	v_add_u32_e32 v0, s6, v0
	v_cndmask_b32_e64 v1, v29, 0, s[4:5]
	v_lshl_add_u32 v1, v0, 2, v1
	v_subrev_u32_e32 v0, s10, v0
	s_and_b64 s[0:1], s[0:1], vcc
	buffer_store_dwordx4 v[60:63], v1, s[12:15], 0 offen
	v_lshlrev_b32_e32 v1, 2, v0
	v_cndmask_b32_e64 v2, v29, 0, s[0:1]
	v_cmp_gt_i32_e64 s[0:1], s8, v80
	v_add_u32_e32 v2, v1, v2
	s_and_b64 s[4:5], s[0:1], vcc
	buffer_store_dwordx4 v[24:27], v2, s[12:15], 0 offen
	v_cndmask_b32_e64 v2, v29, 0, s[4:5]
	v_max_f32_e32 v33, 0, v33
	v_max_f32_e32 v32, 0, v32
	;; [unrolled: 1-line block ×4, first 2 shown]
	v_add3_u32 v1, v2, s9, v1
	s_add_i32 s4, s7, s6
	s_and_b64 s[0:1], s[0:1], s[2:3]
	buffer_store_dwordx4 v[30:33], v1, s[12:15], 0 offen
	v_lshl_add_u32 v0, s4, 6, v0
	v_cndmask_b32_e64 v1, v29, 0, s[0:1]
	v_cmp_ge_i32_e64 s[0:1], s8, v80
	v_max_f32_e32 v67, 0, v39
	v_lshl_add_u32 v1, v0, 2, v1
	s_and_b64 s[0:1], s[0:1], s[2:3]
	buffer_store_dwordx4 v[66:69], v1, s[12:15], 0 offen
	v_subrev_u32_e32 v0, s6, v0
	v_cndmask_b32_e64 v1, v29, 0, s[0:1]
	v_cmp_gt_i32_e64 s[0:1], s8, v79
	v_lshl_add_u32 v1, v0, 2, v1
	s_and_b64 s[0:1], s[0:1], vcc
	buffer_store_dwordx4 v[44:47], v1, s[12:15], 0 offen
	v_subrev_u32_e32 v0, s10, v0
	v_cndmask_b32_e64 v1, v29, 0, s[0:1]
	v_cmp_ge_i32_e64 s[0:1], s8, v79
	v_lshl_add_u32 v1, v0, 2, v1
	s_and_b64 s[0:1], s[0:1], vcc
	buffer_store_dwordx4 v[34:37], v1, s[12:15], 0 offen
	v_subrev_u32_e32 v0, s6, v0
	v_cndmask_b32_e64 v1, v29, 0, s[0:1]
	v_cmp_gt_i32_e64 s[0:1], s8, v78
	v_max_f32_e32 v40, 0, v40
	v_lshl_add_u32 v1, v0, 2, v1
	s_and_b64 s[0:1], s[0:1], s[2:3]
	buffer_store_dwordx4 v[40:43], v1, s[12:15], 0 offen
	v_add_u32_e32 v0, s10, v0
	v_cndmask_b32_e64 v1, v29, 0, s[0:1]
	v_cmp_ge_i32_e64 s[0:1], s8, v78
	v_max_f32_e32 v51, 0, v51
	v_max_f32_e32 v50, 0, v50
	v_lshl_add_u32 v1, v0, 2, v1
	v_subrev_u32_e32 v0, s6, v0
	s_and_b64 s[0:1], s[0:1], s[2:3]
	buffer_store_dwordx4 v[50:53], v1, s[12:15], 0 offen
	v_lshlrev_b32_e32 v0, 2, v0
	v_cndmask_b32_e64 v1, v29, 0, s[0:1]
	v_cmp_gt_i32_e64 s[0:1], s8, v104
	v_add_u32_e32 v1, v0, v1
	s_and_b64 s[0:1], s[0:1], vcc
	buffer_store_dwordx4 v[56:59], v1, s[12:15], 0 offen
	v_cndmask_b32_e64 v1, v29, 0, s[0:1]
	s_lshl_b32 s0, s7, 8
	v_subrev_u32_e32 v1, s0, v1
	v_add_u32_e32 v0, v1, v0
	buffer_store_dwordx4 v[96:99], v0, s[12:15], 0 offen
	s_endpgm
	.section	.rodata,"a",@progbits
	.p2align	6, 0x0
	.amdhsa_kernel _ZN2ck16tensor_operation6device12_GLOBAL__N_137kernel_grouped_conv_fwd_dl_multiple_dINS_32GridwiseGemmDlMultipleD_km_kn_mnILi256EffNS_5TupleIJfEEEfNS0_12element_wise11PassThroughES8_NS7_7AddReluELNS_25InMemoryDataOperationEnumE0ENS_16TensorDescriptorINS5_IJNS_5EmbedINS5_IJiiiiEEESD_Lb0EEENS_11PassThroughIiEENS_3PadIiiiLb0EEESI_SG_SG_NSC_INS5_IJiiEEESJ_Lb0EEESK_SG_NS_23Merge_v2_magic_divisionINS5_IJiiiEEEEESN_NS_8RightPadIiiLb0EEESP_NS_7UnMergeISJ_Lb0EEESG_EEENS5_IJNS_8SequenceIJLi0EEEENST_IJLi1EEEENST_IJLi2EEEENST_IJLi3EEEENST_IJLi4EEEENST_IJLi5EEEENST_IJLi6EEEENST_IJLi7EEEENST_IJLi8EEEENST_IJLi9ELi11ELi13EEEENST_IJLi10ELi12ELi14EEEENST_IJLi15EEEENST_IJLi16EEEENST_IJLi18EEEENST_IJLi17EEEEEEENS5_IJNST_IJLi1ELi2ELi3ELi4EEEESZ_S10_S11_S12_NST_IJLi9EEEENST_IJLi10ELi11EEEENST_IJLi12ELi13EEEENST_IJLi14EEEES15_S16_S18_S17_NST_IJLi19ELi20EEEENST_IJLi21EEEEEEENST_IJLi19ELi21ELi20EEEElEENSB_INS5_IJSR_SP_SP_SR_SG_EEENS5_IJSU_SV_SW_SY_SX_EEENS5_IJNST_IJLi1ELi2EEEESX_SY_NST_IJLi5ELi6EEEES11_EEENST_IJLi5ELi7ELi6EEEElEENSB_INS5_IJSK_SP_SP_EEENS5_IJSU_SV_SW_EEENS5_IJS1M_SX_SY_EEENST_IJLi3ELi4EEEElEELi128ELi128ELi16ELi1ELi4ELi4ELi1ENST_IJLi8ELi2EEEES1W_NST_IJLi8ELi1ELi1ELi1EEEENST_IJLi2ELi1ELi128ELi1EEEENST_IJLi1ELi2ELi0ELi3EEEES1Z_NST_IJLi4ELi1ELi1ELi1EEEES1Z_NST_IJLi1ELi1ELi1ELi1EEEES1X_S1Y_S1Z_S1Z_S20_S1Z_S21_NST_IJLi0ELi1ELi2ELi3ELi4ELi5EEEELi5ELi4EEEfNS5_IJPKfEEEfS8_S8_S9_NSB_INS5_IJSE_SG_SI_SI_SG_SG_SK_SK_SG_SN_SN_SP_SP_SR_SG_SG_NSQ_INS5_IJiNS_17integral_constantIiLi128EEEEEELb0EEENSF_INS27_IiLi1EEEEEEEENS5_IJSU_SV_SW_SX_SY_SZ_S10_S11_S12_S13_S14_S15_S16_S17_S18_NST_IJLi19EEEES1G_NST_IJLi20EEEEEEENS5_IJS1A_SZ_S10_S11_S12_S1B_S1C_S1D_S1E_S15_S16_S18_S17_S1F_S1G_NST_IJLi22EEEENST_IJLi23ELi24EEEENST_IJLi25EEEEEEENST_IJLi22ELi23ELi24ELi25EEEElEENSB_INS5_IJSR_SP_SP_SR_SG_SG_S2A_S2C_EEENS5_IJSU_SV_SW_SY_SX_SZ_S11_S10_EEENS5_IJS1M_SX_SY_S1N_S11_S12_NST_IJLi9ELi10EEEENST_IJLi11EEEEEEENST_IJLi8ELi9ELi10ELi11EEEElEENS5_IJNSB_INS5_IJSK_SP_SP_NSQ_INS5_IJiNS27_IiLi2EEENS27_IiLi64EEEEEELb0EEES2X_EEENS5_IJSU_SV_SW_SX_SY_EEENS5_IJS1M_SX_SY_NST_IJLi5ELi6ELi7EEEENST_IJLi8ELi9ELi10EEEEEEENST_IJLi5ELi6ELi7ELi8ELi9ELi10EEEElEEEEES34_NS_31BlockToCTileMap_M00_N00_M01_N01ILi128ELi128ES1V_Lb0EEENS1_30ComputePtrOffsetOfStridedBatchILi1ELi1ELi1EvEELb0ELb1EEEvPKT0_S3C_T1_PT2_T3_T4_T5_iT6_T7_T8_T9_T10_T11_
		.amdhsa_group_segment_fixed_size 32768
		.amdhsa_private_segment_fixed_size 0
		.amdhsa_kernarg_size 968
		.amdhsa_user_sgpr_count 6
		.amdhsa_user_sgpr_private_segment_buffer 1
		.amdhsa_user_sgpr_dispatch_ptr 0
		.amdhsa_user_sgpr_queue_ptr 0
		.amdhsa_user_sgpr_kernarg_segment_ptr 1
		.amdhsa_user_sgpr_dispatch_id 0
		.amdhsa_user_sgpr_flat_scratch_init 0
		.amdhsa_user_sgpr_kernarg_preload_length 0
		.amdhsa_user_sgpr_kernarg_preload_offset 0
		.amdhsa_user_sgpr_private_segment_size 0
		.amdhsa_uses_dynamic_stack 0
		.amdhsa_system_sgpr_private_segment_wavefront_offset 0
		.amdhsa_system_sgpr_workgroup_id_x 1
		.amdhsa_system_sgpr_workgroup_id_y 0
		.amdhsa_system_sgpr_workgroup_id_z 0
		.amdhsa_system_sgpr_workgroup_info 0
		.amdhsa_system_vgpr_workitem_id 0
		.amdhsa_next_free_vgpr 105
		.amdhsa_next_free_sgpr 78
		.amdhsa_accum_offset 108
		.amdhsa_reserve_vcc 1
		.amdhsa_reserve_flat_scratch 0
		.amdhsa_float_round_mode_32 0
		.amdhsa_float_round_mode_16_64 0
		.amdhsa_float_denorm_mode_32 3
		.amdhsa_float_denorm_mode_16_64 3
		.amdhsa_dx10_clamp 1
		.amdhsa_ieee_mode 1
		.amdhsa_fp16_overflow 0
		.amdhsa_tg_split 0
		.amdhsa_exception_fp_ieee_invalid_op 0
		.amdhsa_exception_fp_denorm_src 0
		.amdhsa_exception_fp_ieee_div_zero 0
		.amdhsa_exception_fp_ieee_overflow 0
		.amdhsa_exception_fp_ieee_underflow 0
		.amdhsa_exception_fp_ieee_inexact 0
		.amdhsa_exception_int_div_zero 0
	.end_amdhsa_kernel
	.section	.text._ZN2ck16tensor_operation6device12_GLOBAL__N_137kernel_grouped_conv_fwd_dl_multiple_dINS_32GridwiseGemmDlMultipleD_km_kn_mnILi256EffNS_5TupleIJfEEEfNS0_12element_wise11PassThroughES8_NS7_7AddReluELNS_25InMemoryDataOperationEnumE0ENS_16TensorDescriptorINS5_IJNS_5EmbedINS5_IJiiiiEEESD_Lb0EEENS_11PassThroughIiEENS_3PadIiiiLb0EEESI_SG_SG_NSC_INS5_IJiiEEESJ_Lb0EEESK_SG_NS_23Merge_v2_magic_divisionINS5_IJiiiEEEEESN_NS_8RightPadIiiLb0EEESP_NS_7UnMergeISJ_Lb0EEESG_EEENS5_IJNS_8SequenceIJLi0EEEENST_IJLi1EEEENST_IJLi2EEEENST_IJLi3EEEENST_IJLi4EEEENST_IJLi5EEEENST_IJLi6EEEENST_IJLi7EEEENST_IJLi8EEEENST_IJLi9ELi11ELi13EEEENST_IJLi10ELi12ELi14EEEENST_IJLi15EEEENST_IJLi16EEEENST_IJLi18EEEENST_IJLi17EEEEEEENS5_IJNST_IJLi1ELi2ELi3ELi4EEEESZ_S10_S11_S12_NST_IJLi9EEEENST_IJLi10ELi11EEEENST_IJLi12ELi13EEEENST_IJLi14EEEES15_S16_S18_S17_NST_IJLi19ELi20EEEENST_IJLi21EEEEEEENST_IJLi19ELi21ELi20EEEElEENSB_INS5_IJSR_SP_SP_SR_SG_EEENS5_IJSU_SV_SW_SY_SX_EEENS5_IJNST_IJLi1ELi2EEEESX_SY_NST_IJLi5ELi6EEEES11_EEENST_IJLi5ELi7ELi6EEEElEENSB_INS5_IJSK_SP_SP_EEENS5_IJSU_SV_SW_EEENS5_IJS1M_SX_SY_EEENST_IJLi3ELi4EEEElEELi128ELi128ELi16ELi1ELi4ELi4ELi1ENST_IJLi8ELi2EEEES1W_NST_IJLi8ELi1ELi1ELi1EEEENST_IJLi2ELi1ELi128ELi1EEEENST_IJLi1ELi2ELi0ELi3EEEES1Z_NST_IJLi4ELi1ELi1ELi1EEEES1Z_NST_IJLi1ELi1ELi1ELi1EEEES1X_S1Y_S1Z_S1Z_S20_S1Z_S21_NST_IJLi0ELi1ELi2ELi3ELi4ELi5EEEELi5ELi4EEEfNS5_IJPKfEEEfS8_S8_S9_NSB_INS5_IJSE_SG_SI_SI_SG_SG_SK_SK_SG_SN_SN_SP_SP_SR_SG_SG_NSQ_INS5_IJiNS_17integral_constantIiLi128EEEEEELb0EEENSF_INS27_IiLi1EEEEEEEENS5_IJSU_SV_SW_SX_SY_SZ_S10_S11_S12_S13_S14_S15_S16_S17_S18_NST_IJLi19EEEES1G_NST_IJLi20EEEEEEENS5_IJS1A_SZ_S10_S11_S12_S1B_S1C_S1D_S1E_S15_S16_S18_S17_S1F_S1G_NST_IJLi22EEEENST_IJLi23ELi24EEEENST_IJLi25EEEEEEENST_IJLi22ELi23ELi24ELi25EEEElEENSB_INS5_IJSR_SP_SP_SR_SG_SG_S2A_S2C_EEENS5_IJSU_SV_SW_SY_SX_SZ_S11_S10_EEENS5_IJS1M_SX_SY_S1N_S11_S12_NST_IJLi9ELi10EEEENST_IJLi11EEEEEEENST_IJLi8ELi9ELi10ELi11EEEElEENS5_IJNSB_INS5_IJSK_SP_SP_NSQ_INS5_IJiNS27_IiLi2EEENS27_IiLi64EEEEEELb0EEES2X_EEENS5_IJSU_SV_SW_SX_SY_EEENS5_IJS1M_SX_SY_NST_IJLi5ELi6ELi7EEEENST_IJLi8ELi9ELi10EEEEEEENST_IJLi5ELi6ELi7ELi8ELi9ELi10EEEElEEEEES34_NS_31BlockToCTileMap_M00_N00_M01_N01ILi128ELi128ES1V_Lb0EEENS1_30ComputePtrOffsetOfStridedBatchILi1ELi1ELi1EvEELb0ELb1EEEvPKT0_S3C_T1_PT2_T3_T4_T5_iT6_T7_T8_T9_T10_T11_,"axG",@progbits,_ZN2ck16tensor_operation6device12_GLOBAL__N_137kernel_grouped_conv_fwd_dl_multiple_dINS_32GridwiseGemmDlMultipleD_km_kn_mnILi256EffNS_5TupleIJfEEEfNS0_12element_wise11PassThroughES8_NS7_7AddReluELNS_25InMemoryDataOperationEnumE0ENS_16TensorDescriptorINS5_IJNS_5EmbedINS5_IJiiiiEEESD_Lb0EEENS_11PassThroughIiEENS_3PadIiiiLb0EEESI_SG_SG_NSC_INS5_IJiiEEESJ_Lb0EEESK_SG_NS_23Merge_v2_magic_divisionINS5_IJiiiEEEEESN_NS_8RightPadIiiLb0EEESP_NS_7UnMergeISJ_Lb0EEESG_EEENS5_IJNS_8SequenceIJLi0EEEENST_IJLi1EEEENST_IJLi2EEEENST_IJLi3EEEENST_IJLi4EEEENST_IJLi5EEEENST_IJLi6EEEENST_IJLi7EEEENST_IJLi8EEEENST_IJLi9ELi11ELi13EEEENST_IJLi10ELi12ELi14EEEENST_IJLi15EEEENST_IJLi16EEEENST_IJLi18EEEENST_IJLi17EEEEEEENS5_IJNST_IJLi1ELi2ELi3ELi4EEEESZ_S10_S11_S12_NST_IJLi9EEEENST_IJLi10ELi11EEEENST_IJLi12ELi13EEEENST_IJLi14EEEES15_S16_S18_S17_NST_IJLi19ELi20EEEENST_IJLi21EEEEEEENST_IJLi19ELi21ELi20EEEElEENSB_INS5_IJSR_SP_SP_SR_SG_EEENS5_IJSU_SV_SW_SY_SX_EEENS5_IJNST_IJLi1ELi2EEEESX_SY_NST_IJLi5ELi6EEEES11_EEENST_IJLi5ELi7ELi6EEEElEENSB_INS5_IJSK_SP_SP_EEENS5_IJSU_SV_SW_EEENS5_IJS1M_SX_SY_EEENST_IJLi3ELi4EEEElEELi128ELi128ELi16ELi1ELi4ELi4ELi1ENST_IJLi8ELi2EEEES1W_NST_IJLi8ELi1ELi1ELi1EEEENST_IJLi2ELi1ELi128ELi1EEEENST_IJLi1ELi2ELi0ELi3EEEES1Z_NST_IJLi4ELi1ELi1ELi1EEEES1Z_NST_IJLi1ELi1ELi1ELi1EEEES1X_S1Y_S1Z_S1Z_S20_S1Z_S21_NST_IJLi0ELi1ELi2ELi3ELi4ELi5EEEELi5ELi4EEEfNS5_IJPKfEEEfS8_S8_S9_NSB_INS5_IJSE_SG_SI_SI_SG_SG_SK_SK_SG_SN_SN_SP_SP_SR_SG_SG_NSQ_INS5_IJiNS_17integral_constantIiLi128EEEEEELb0EEENSF_INS27_IiLi1EEEEEEEENS5_IJSU_SV_SW_SX_SY_SZ_S10_S11_S12_S13_S14_S15_S16_S17_S18_NST_IJLi19EEEES1G_NST_IJLi20EEEEEEENS5_IJS1A_SZ_S10_S11_S12_S1B_S1C_S1D_S1E_S15_S16_S18_S17_S1F_S1G_NST_IJLi22EEEENST_IJLi23ELi24EEEENST_IJLi25EEEEEEENST_IJLi22ELi23ELi24ELi25EEEElEENSB_INS5_IJSR_SP_SP_SR_SG_SG_S2A_S2C_EEENS5_IJSU_SV_SW_SY_SX_SZ_S11_S10_EEENS5_IJS1M_SX_SY_S1N_S11_S12_NST_IJLi9ELi10EEEENST_IJLi11EEEEEEENST_IJLi8ELi9ELi10ELi11EEEElEENS5_IJNSB_INS5_IJSK_SP_SP_NSQ_INS5_IJiNS27_IiLi2EEENS27_IiLi64EEEEEELb0EEES2X_EEENS5_IJSU_SV_SW_SX_SY_EEENS5_IJS1M_SX_SY_NST_IJLi5ELi6ELi7EEEENST_IJLi8ELi9ELi10EEEEEEENST_IJLi5ELi6ELi7ELi8ELi9ELi10EEEElEEEEES34_NS_31BlockToCTileMap_M00_N00_M01_N01ILi128ELi128ES1V_Lb0EEENS1_30ComputePtrOffsetOfStridedBatchILi1ELi1ELi1EvEELb0ELb1EEEvPKT0_S3C_T1_PT2_T3_T4_T5_iT6_T7_T8_T9_T10_T11_,comdat
.Lfunc_end11:
	.size	_ZN2ck16tensor_operation6device12_GLOBAL__N_137kernel_grouped_conv_fwd_dl_multiple_dINS_32GridwiseGemmDlMultipleD_km_kn_mnILi256EffNS_5TupleIJfEEEfNS0_12element_wise11PassThroughES8_NS7_7AddReluELNS_25InMemoryDataOperationEnumE0ENS_16TensorDescriptorINS5_IJNS_5EmbedINS5_IJiiiiEEESD_Lb0EEENS_11PassThroughIiEENS_3PadIiiiLb0EEESI_SG_SG_NSC_INS5_IJiiEEESJ_Lb0EEESK_SG_NS_23Merge_v2_magic_divisionINS5_IJiiiEEEEESN_NS_8RightPadIiiLb0EEESP_NS_7UnMergeISJ_Lb0EEESG_EEENS5_IJNS_8SequenceIJLi0EEEENST_IJLi1EEEENST_IJLi2EEEENST_IJLi3EEEENST_IJLi4EEEENST_IJLi5EEEENST_IJLi6EEEENST_IJLi7EEEENST_IJLi8EEEENST_IJLi9ELi11ELi13EEEENST_IJLi10ELi12ELi14EEEENST_IJLi15EEEENST_IJLi16EEEENST_IJLi18EEEENST_IJLi17EEEEEEENS5_IJNST_IJLi1ELi2ELi3ELi4EEEESZ_S10_S11_S12_NST_IJLi9EEEENST_IJLi10ELi11EEEENST_IJLi12ELi13EEEENST_IJLi14EEEES15_S16_S18_S17_NST_IJLi19ELi20EEEENST_IJLi21EEEEEEENST_IJLi19ELi21ELi20EEEElEENSB_INS5_IJSR_SP_SP_SR_SG_EEENS5_IJSU_SV_SW_SY_SX_EEENS5_IJNST_IJLi1ELi2EEEESX_SY_NST_IJLi5ELi6EEEES11_EEENST_IJLi5ELi7ELi6EEEElEENSB_INS5_IJSK_SP_SP_EEENS5_IJSU_SV_SW_EEENS5_IJS1M_SX_SY_EEENST_IJLi3ELi4EEEElEELi128ELi128ELi16ELi1ELi4ELi4ELi1ENST_IJLi8ELi2EEEES1W_NST_IJLi8ELi1ELi1ELi1EEEENST_IJLi2ELi1ELi128ELi1EEEENST_IJLi1ELi2ELi0ELi3EEEES1Z_NST_IJLi4ELi1ELi1ELi1EEEES1Z_NST_IJLi1ELi1ELi1ELi1EEEES1X_S1Y_S1Z_S1Z_S20_S1Z_S21_NST_IJLi0ELi1ELi2ELi3ELi4ELi5EEEELi5ELi4EEEfNS5_IJPKfEEEfS8_S8_S9_NSB_INS5_IJSE_SG_SI_SI_SG_SG_SK_SK_SG_SN_SN_SP_SP_SR_SG_SG_NSQ_INS5_IJiNS_17integral_constantIiLi128EEEEEELb0EEENSF_INS27_IiLi1EEEEEEEENS5_IJSU_SV_SW_SX_SY_SZ_S10_S11_S12_S13_S14_S15_S16_S17_S18_NST_IJLi19EEEES1G_NST_IJLi20EEEEEEENS5_IJS1A_SZ_S10_S11_S12_S1B_S1C_S1D_S1E_S15_S16_S18_S17_S1F_S1G_NST_IJLi22EEEENST_IJLi23ELi24EEEENST_IJLi25EEEEEEENST_IJLi22ELi23ELi24ELi25EEEElEENSB_INS5_IJSR_SP_SP_SR_SG_SG_S2A_S2C_EEENS5_IJSU_SV_SW_SY_SX_SZ_S11_S10_EEENS5_IJS1M_SX_SY_S1N_S11_S12_NST_IJLi9ELi10EEEENST_IJLi11EEEEEEENST_IJLi8ELi9ELi10ELi11EEEElEENS5_IJNSB_INS5_IJSK_SP_SP_NSQ_INS5_IJiNS27_IiLi2EEENS27_IiLi64EEEEEELb0EEES2X_EEENS5_IJSU_SV_SW_SX_SY_EEENS5_IJS1M_SX_SY_NST_IJLi5ELi6ELi7EEEENST_IJLi8ELi9ELi10EEEEEEENST_IJLi5ELi6ELi7ELi8ELi9ELi10EEEElEEEEES34_NS_31BlockToCTileMap_M00_N00_M01_N01ILi128ELi128ES1V_Lb0EEENS1_30ComputePtrOffsetOfStridedBatchILi1ELi1ELi1EvEELb0ELb1EEEvPKT0_S3C_T1_PT2_T3_T4_T5_iT6_T7_T8_T9_T10_T11_, .Lfunc_end11-_ZN2ck16tensor_operation6device12_GLOBAL__N_137kernel_grouped_conv_fwd_dl_multiple_dINS_32GridwiseGemmDlMultipleD_km_kn_mnILi256EffNS_5TupleIJfEEEfNS0_12element_wise11PassThroughES8_NS7_7AddReluELNS_25InMemoryDataOperationEnumE0ENS_16TensorDescriptorINS5_IJNS_5EmbedINS5_IJiiiiEEESD_Lb0EEENS_11PassThroughIiEENS_3PadIiiiLb0EEESI_SG_SG_NSC_INS5_IJiiEEESJ_Lb0EEESK_SG_NS_23Merge_v2_magic_divisionINS5_IJiiiEEEEESN_NS_8RightPadIiiLb0EEESP_NS_7UnMergeISJ_Lb0EEESG_EEENS5_IJNS_8SequenceIJLi0EEEENST_IJLi1EEEENST_IJLi2EEEENST_IJLi3EEEENST_IJLi4EEEENST_IJLi5EEEENST_IJLi6EEEENST_IJLi7EEEENST_IJLi8EEEENST_IJLi9ELi11ELi13EEEENST_IJLi10ELi12ELi14EEEENST_IJLi15EEEENST_IJLi16EEEENST_IJLi18EEEENST_IJLi17EEEEEEENS5_IJNST_IJLi1ELi2ELi3ELi4EEEESZ_S10_S11_S12_NST_IJLi9EEEENST_IJLi10ELi11EEEENST_IJLi12ELi13EEEENST_IJLi14EEEES15_S16_S18_S17_NST_IJLi19ELi20EEEENST_IJLi21EEEEEEENST_IJLi19ELi21ELi20EEEElEENSB_INS5_IJSR_SP_SP_SR_SG_EEENS5_IJSU_SV_SW_SY_SX_EEENS5_IJNST_IJLi1ELi2EEEESX_SY_NST_IJLi5ELi6EEEES11_EEENST_IJLi5ELi7ELi6EEEElEENSB_INS5_IJSK_SP_SP_EEENS5_IJSU_SV_SW_EEENS5_IJS1M_SX_SY_EEENST_IJLi3ELi4EEEElEELi128ELi128ELi16ELi1ELi4ELi4ELi1ENST_IJLi8ELi2EEEES1W_NST_IJLi8ELi1ELi1ELi1EEEENST_IJLi2ELi1ELi128ELi1EEEENST_IJLi1ELi2ELi0ELi3EEEES1Z_NST_IJLi4ELi1ELi1ELi1EEEES1Z_NST_IJLi1ELi1ELi1ELi1EEEES1X_S1Y_S1Z_S1Z_S20_S1Z_S21_NST_IJLi0ELi1ELi2ELi3ELi4ELi5EEEELi5ELi4EEEfNS5_IJPKfEEEfS8_S8_S9_NSB_INS5_IJSE_SG_SI_SI_SG_SG_SK_SK_SG_SN_SN_SP_SP_SR_SG_SG_NSQ_INS5_IJiNS_17integral_constantIiLi128EEEEEELb0EEENSF_INS27_IiLi1EEEEEEEENS5_IJSU_SV_SW_SX_SY_SZ_S10_S11_S12_S13_S14_S15_S16_S17_S18_NST_IJLi19EEEES1G_NST_IJLi20EEEEEEENS5_IJS1A_SZ_S10_S11_S12_S1B_S1C_S1D_S1E_S15_S16_S18_S17_S1F_S1G_NST_IJLi22EEEENST_IJLi23ELi24EEEENST_IJLi25EEEEEEENST_IJLi22ELi23ELi24ELi25EEEElEENSB_INS5_IJSR_SP_SP_SR_SG_SG_S2A_S2C_EEENS5_IJSU_SV_SW_SY_SX_SZ_S11_S10_EEENS5_IJS1M_SX_SY_S1N_S11_S12_NST_IJLi9ELi10EEEENST_IJLi11EEEEEEENST_IJLi8ELi9ELi10ELi11EEEElEENS5_IJNSB_INS5_IJSK_SP_SP_NSQ_INS5_IJiNS27_IiLi2EEENS27_IiLi64EEEEEELb0EEES2X_EEENS5_IJSU_SV_SW_SX_SY_EEENS5_IJS1M_SX_SY_NST_IJLi5ELi6ELi7EEEENST_IJLi8ELi9ELi10EEEEEEENST_IJLi5ELi6ELi7ELi8ELi9ELi10EEEElEEEEES34_NS_31BlockToCTileMap_M00_N00_M01_N01ILi128ELi128ES1V_Lb0EEENS1_30ComputePtrOffsetOfStridedBatchILi1ELi1ELi1EvEELb0ELb1EEEvPKT0_S3C_T1_PT2_T3_T4_T5_iT6_T7_T8_T9_T10_T11_
                                        ; -- End function
	.section	.AMDGPU.csdata,"",@progbits
; Kernel info:
; codeLenInByte = 22560
; NumSgprs: 82
; NumVgprs: 105
; NumAgprs: 0
; TotalNumVgprs: 105
; ScratchSize: 0
; MemoryBound: 0
; FloatMode: 240
; IeeeMode: 1
; LDSByteSize: 32768 bytes/workgroup (compile time only)
; SGPRBlocks: 10
; VGPRBlocks: 13
; NumSGPRsForWavesPerEU: 82
; NumVGPRsForWavesPerEU: 105
; AccumOffset: 108
; Occupancy: 2
; WaveLimiterHint : 0
; COMPUTE_PGM_RSRC2:SCRATCH_EN: 0
; COMPUTE_PGM_RSRC2:USER_SGPR: 6
; COMPUTE_PGM_RSRC2:TRAP_HANDLER: 0
; COMPUTE_PGM_RSRC2:TGID_X_EN: 1
; COMPUTE_PGM_RSRC2:TGID_Y_EN: 0
; COMPUTE_PGM_RSRC2:TGID_Z_EN: 0
; COMPUTE_PGM_RSRC2:TIDIG_COMP_CNT: 0
; COMPUTE_PGM_RSRC3_GFX90A:ACCUM_OFFSET: 26
; COMPUTE_PGM_RSRC3_GFX90A:TG_SPLIT: 0
	.section	.text._ZN2ck16tensor_operation6device12_GLOBAL__N_137kernel_grouped_conv_fwd_dl_multiple_dINS_32GridwiseGemmDlMultipleD_km_kn_mnILi256EffNS_5TupleIJfEEEfNS0_12element_wise11PassThroughES8_NS7_7AddReluELNS_25InMemoryDataOperationEnumE0ENS_16TensorDescriptorINS5_IJNS_5EmbedINS5_IJiiiiEEESD_Lb0EEENS_11PassThroughIiEENS_3PadIiiiLb0EEESI_SG_SG_NSC_INS5_IJiiEEESJ_Lb0EEESK_SG_NS_23Merge_v2_magic_divisionINS5_IJiiiEEEEESN_NS_8RightPadIiiLb0EEESP_NS_7UnMergeISJ_Lb0EEESG_EEENS5_IJNS_8SequenceIJLi0EEEENST_IJLi1EEEENST_IJLi2EEEENST_IJLi3EEEENST_IJLi4EEEENST_IJLi5EEEENST_IJLi6EEEENST_IJLi7EEEENST_IJLi8EEEENST_IJLi9ELi11ELi13EEEENST_IJLi10ELi12ELi14EEEENST_IJLi15EEEENST_IJLi16EEEENST_IJLi18EEEENST_IJLi17EEEEEEENS5_IJNST_IJLi1ELi2ELi3ELi4EEEESZ_S10_S11_S12_NST_IJLi9EEEENST_IJLi10ELi11EEEENST_IJLi12ELi13EEEENST_IJLi14EEEES15_S16_S18_S17_NST_IJLi19ELi20EEEENST_IJLi21EEEEEEENST_IJLi19ELi21ELi20EEEElEENSB_INS5_IJSR_SP_SP_SR_SG_EEENS5_IJSU_SV_SW_SY_SX_EEENS5_IJNST_IJLi1ELi2EEEESX_SY_NST_IJLi5ELi6EEEES11_EEENST_IJLi5ELi7ELi6EEEElEENSB_INS5_IJSK_SP_SP_EEENS5_IJSU_SV_SW_EEENS5_IJS1M_SX_SY_EEENST_IJLi3ELi4EEEElEELi128ELi128ELi16ELi1ELi4ELi4ELi1ENST_IJLi8ELi2EEEES1W_NST_IJLi8ELi1ELi1ELi1EEEENST_IJLi2ELi1ELi128ELi1EEEENST_IJLi1ELi2ELi0ELi3EEEES1Z_NST_IJLi4ELi1ELi1ELi1EEEES1Z_NST_IJLi1ELi1ELi1ELi1EEEES1X_S1Y_S1Z_S1Z_S20_S1Z_S21_NST_IJLi0ELi1ELi2ELi3ELi4ELi5EEEELi5ELi4EEEfNS5_IJPKfEEEfS8_S8_S9_NSB_INS5_IJSE_SG_SI_SI_SG_SG_SK_SK_SG_SN_SN_SP_SP_SR_SG_SG_NSQ_INS5_IJiNS_17integral_constantIiLi128EEEEEELb0EEENSF_INS27_IiLi1EEEEEEEENS5_IJSU_SV_SW_SX_SY_SZ_S10_S11_S12_S13_S14_S15_S16_S17_S18_NST_IJLi19EEEES1G_NST_IJLi20EEEEEEENS5_IJS1A_SZ_S10_S11_S12_S1B_S1C_S1D_S1E_S15_S16_S18_S17_S1F_S1G_NST_IJLi22EEEENST_IJLi23ELi24EEEENST_IJLi25EEEEEEENST_IJLi22ELi23ELi24ELi25EEEElEENSB_INS5_IJSR_SP_SP_SR_SG_SG_S2A_S2C_EEENS5_IJSU_SV_SW_SY_SX_SZ_S11_S10_EEENS5_IJS1M_SX_SY_S1N_S11_S12_NST_IJLi9ELi10EEEENST_IJLi11EEEEEEENST_IJLi8ELi9ELi10ELi11EEEElEENS5_IJNSB_INS5_IJSK_SP_SP_NSQ_INS5_IJiNS27_IiLi2EEENS27_IiLi64EEEEEELb0EEES2X_EEENS5_IJSU_SV_SW_SX_SY_EEENS5_IJS1M_SX_SY_NST_IJLi5ELi6ELi7EEEENST_IJLi8ELi9ELi10EEEEEEENST_IJLi5ELi6ELi7ELi8ELi9ELi10EEEElEEEEES34_NS_31BlockToCTileMap_M00_N00_M01_N01ILi128ELi128ES1V_Lb0EEENS1_30ComputePtrOffsetOfStridedBatchILi1ELi1ELi1EvEELb0ELb0EEEvPKT0_S3C_T1_PT2_T3_T4_T5_iT6_T7_T8_T9_T10_T11_,"axG",@progbits,_ZN2ck16tensor_operation6device12_GLOBAL__N_137kernel_grouped_conv_fwd_dl_multiple_dINS_32GridwiseGemmDlMultipleD_km_kn_mnILi256EffNS_5TupleIJfEEEfNS0_12element_wise11PassThroughES8_NS7_7AddReluELNS_25InMemoryDataOperationEnumE0ENS_16TensorDescriptorINS5_IJNS_5EmbedINS5_IJiiiiEEESD_Lb0EEENS_11PassThroughIiEENS_3PadIiiiLb0EEESI_SG_SG_NSC_INS5_IJiiEEESJ_Lb0EEESK_SG_NS_23Merge_v2_magic_divisionINS5_IJiiiEEEEESN_NS_8RightPadIiiLb0EEESP_NS_7UnMergeISJ_Lb0EEESG_EEENS5_IJNS_8SequenceIJLi0EEEENST_IJLi1EEEENST_IJLi2EEEENST_IJLi3EEEENST_IJLi4EEEENST_IJLi5EEEENST_IJLi6EEEENST_IJLi7EEEENST_IJLi8EEEENST_IJLi9ELi11ELi13EEEENST_IJLi10ELi12ELi14EEEENST_IJLi15EEEENST_IJLi16EEEENST_IJLi18EEEENST_IJLi17EEEEEEENS5_IJNST_IJLi1ELi2ELi3ELi4EEEESZ_S10_S11_S12_NST_IJLi9EEEENST_IJLi10ELi11EEEENST_IJLi12ELi13EEEENST_IJLi14EEEES15_S16_S18_S17_NST_IJLi19ELi20EEEENST_IJLi21EEEEEEENST_IJLi19ELi21ELi20EEEElEENSB_INS5_IJSR_SP_SP_SR_SG_EEENS5_IJSU_SV_SW_SY_SX_EEENS5_IJNST_IJLi1ELi2EEEESX_SY_NST_IJLi5ELi6EEEES11_EEENST_IJLi5ELi7ELi6EEEElEENSB_INS5_IJSK_SP_SP_EEENS5_IJSU_SV_SW_EEENS5_IJS1M_SX_SY_EEENST_IJLi3ELi4EEEElEELi128ELi128ELi16ELi1ELi4ELi4ELi1ENST_IJLi8ELi2EEEES1W_NST_IJLi8ELi1ELi1ELi1EEEENST_IJLi2ELi1ELi128ELi1EEEENST_IJLi1ELi2ELi0ELi3EEEES1Z_NST_IJLi4ELi1ELi1ELi1EEEES1Z_NST_IJLi1ELi1ELi1ELi1EEEES1X_S1Y_S1Z_S1Z_S20_S1Z_S21_NST_IJLi0ELi1ELi2ELi3ELi4ELi5EEEELi5ELi4EEEfNS5_IJPKfEEEfS8_S8_S9_NSB_INS5_IJSE_SG_SI_SI_SG_SG_SK_SK_SG_SN_SN_SP_SP_SR_SG_SG_NSQ_INS5_IJiNS_17integral_constantIiLi128EEEEEELb0EEENSF_INS27_IiLi1EEEEEEEENS5_IJSU_SV_SW_SX_SY_SZ_S10_S11_S12_S13_S14_S15_S16_S17_S18_NST_IJLi19EEEES1G_NST_IJLi20EEEEEEENS5_IJS1A_SZ_S10_S11_S12_S1B_S1C_S1D_S1E_S15_S16_S18_S17_S1F_S1G_NST_IJLi22EEEENST_IJLi23ELi24EEEENST_IJLi25EEEEEEENST_IJLi22ELi23ELi24ELi25EEEElEENSB_INS5_IJSR_SP_SP_SR_SG_SG_S2A_S2C_EEENS5_IJSU_SV_SW_SY_SX_SZ_S11_S10_EEENS5_IJS1M_SX_SY_S1N_S11_S12_NST_IJLi9ELi10EEEENST_IJLi11EEEEEEENST_IJLi8ELi9ELi10ELi11EEEElEENS5_IJNSB_INS5_IJSK_SP_SP_NSQ_INS5_IJiNS27_IiLi2EEENS27_IiLi64EEEEEELb0EEES2X_EEENS5_IJSU_SV_SW_SX_SY_EEENS5_IJS1M_SX_SY_NST_IJLi5ELi6ELi7EEEENST_IJLi8ELi9ELi10EEEEEEENST_IJLi5ELi6ELi7ELi8ELi9ELi10EEEElEEEEES34_NS_31BlockToCTileMap_M00_N00_M01_N01ILi128ELi128ES1V_Lb0EEENS1_30ComputePtrOffsetOfStridedBatchILi1ELi1ELi1EvEELb0ELb0EEEvPKT0_S3C_T1_PT2_T3_T4_T5_iT6_T7_T8_T9_T10_T11_,comdat
	.globl	_ZN2ck16tensor_operation6device12_GLOBAL__N_137kernel_grouped_conv_fwd_dl_multiple_dINS_32GridwiseGemmDlMultipleD_km_kn_mnILi256EffNS_5TupleIJfEEEfNS0_12element_wise11PassThroughES8_NS7_7AddReluELNS_25InMemoryDataOperationEnumE0ENS_16TensorDescriptorINS5_IJNS_5EmbedINS5_IJiiiiEEESD_Lb0EEENS_11PassThroughIiEENS_3PadIiiiLb0EEESI_SG_SG_NSC_INS5_IJiiEEESJ_Lb0EEESK_SG_NS_23Merge_v2_magic_divisionINS5_IJiiiEEEEESN_NS_8RightPadIiiLb0EEESP_NS_7UnMergeISJ_Lb0EEESG_EEENS5_IJNS_8SequenceIJLi0EEEENST_IJLi1EEEENST_IJLi2EEEENST_IJLi3EEEENST_IJLi4EEEENST_IJLi5EEEENST_IJLi6EEEENST_IJLi7EEEENST_IJLi8EEEENST_IJLi9ELi11ELi13EEEENST_IJLi10ELi12ELi14EEEENST_IJLi15EEEENST_IJLi16EEEENST_IJLi18EEEENST_IJLi17EEEEEEENS5_IJNST_IJLi1ELi2ELi3ELi4EEEESZ_S10_S11_S12_NST_IJLi9EEEENST_IJLi10ELi11EEEENST_IJLi12ELi13EEEENST_IJLi14EEEES15_S16_S18_S17_NST_IJLi19ELi20EEEENST_IJLi21EEEEEEENST_IJLi19ELi21ELi20EEEElEENSB_INS5_IJSR_SP_SP_SR_SG_EEENS5_IJSU_SV_SW_SY_SX_EEENS5_IJNST_IJLi1ELi2EEEESX_SY_NST_IJLi5ELi6EEEES11_EEENST_IJLi5ELi7ELi6EEEElEENSB_INS5_IJSK_SP_SP_EEENS5_IJSU_SV_SW_EEENS5_IJS1M_SX_SY_EEENST_IJLi3ELi4EEEElEELi128ELi128ELi16ELi1ELi4ELi4ELi1ENST_IJLi8ELi2EEEES1W_NST_IJLi8ELi1ELi1ELi1EEEENST_IJLi2ELi1ELi128ELi1EEEENST_IJLi1ELi2ELi0ELi3EEEES1Z_NST_IJLi4ELi1ELi1ELi1EEEES1Z_NST_IJLi1ELi1ELi1ELi1EEEES1X_S1Y_S1Z_S1Z_S20_S1Z_S21_NST_IJLi0ELi1ELi2ELi3ELi4ELi5EEEELi5ELi4EEEfNS5_IJPKfEEEfS8_S8_S9_NSB_INS5_IJSE_SG_SI_SI_SG_SG_SK_SK_SG_SN_SN_SP_SP_SR_SG_SG_NSQ_INS5_IJiNS_17integral_constantIiLi128EEEEEELb0EEENSF_INS27_IiLi1EEEEEEEENS5_IJSU_SV_SW_SX_SY_SZ_S10_S11_S12_S13_S14_S15_S16_S17_S18_NST_IJLi19EEEES1G_NST_IJLi20EEEEEEENS5_IJS1A_SZ_S10_S11_S12_S1B_S1C_S1D_S1E_S15_S16_S18_S17_S1F_S1G_NST_IJLi22EEEENST_IJLi23ELi24EEEENST_IJLi25EEEEEEENST_IJLi22ELi23ELi24ELi25EEEElEENSB_INS5_IJSR_SP_SP_SR_SG_SG_S2A_S2C_EEENS5_IJSU_SV_SW_SY_SX_SZ_S11_S10_EEENS5_IJS1M_SX_SY_S1N_S11_S12_NST_IJLi9ELi10EEEENST_IJLi11EEEEEEENST_IJLi8ELi9ELi10ELi11EEEElEENS5_IJNSB_INS5_IJSK_SP_SP_NSQ_INS5_IJiNS27_IiLi2EEENS27_IiLi64EEEEEELb0EEES2X_EEENS5_IJSU_SV_SW_SX_SY_EEENS5_IJS1M_SX_SY_NST_IJLi5ELi6ELi7EEEENST_IJLi8ELi9ELi10EEEEEEENST_IJLi5ELi6ELi7ELi8ELi9ELi10EEEElEEEEES34_NS_31BlockToCTileMap_M00_N00_M01_N01ILi128ELi128ES1V_Lb0EEENS1_30ComputePtrOffsetOfStridedBatchILi1ELi1ELi1EvEELb0ELb0EEEvPKT0_S3C_T1_PT2_T3_T4_T5_iT6_T7_T8_T9_T10_T11_ ; -- Begin function _ZN2ck16tensor_operation6device12_GLOBAL__N_137kernel_grouped_conv_fwd_dl_multiple_dINS_32GridwiseGemmDlMultipleD_km_kn_mnILi256EffNS_5TupleIJfEEEfNS0_12element_wise11PassThroughES8_NS7_7AddReluELNS_25InMemoryDataOperationEnumE0ENS_16TensorDescriptorINS5_IJNS_5EmbedINS5_IJiiiiEEESD_Lb0EEENS_11PassThroughIiEENS_3PadIiiiLb0EEESI_SG_SG_NSC_INS5_IJiiEEESJ_Lb0EEESK_SG_NS_23Merge_v2_magic_divisionINS5_IJiiiEEEEESN_NS_8RightPadIiiLb0EEESP_NS_7UnMergeISJ_Lb0EEESG_EEENS5_IJNS_8SequenceIJLi0EEEENST_IJLi1EEEENST_IJLi2EEEENST_IJLi3EEEENST_IJLi4EEEENST_IJLi5EEEENST_IJLi6EEEENST_IJLi7EEEENST_IJLi8EEEENST_IJLi9ELi11ELi13EEEENST_IJLi10ELi12ELi14EEEENST_IJLi15EEEENST_IJLi16EEEENST_IJLi18EEEENST_IJLi17EEEEEEENS5_IJNST_IJLi1ELi2ELi3ELi4EEEESZ_S10_S11_S12_NST_IJLi9EEEENST_IJLi10ELi11EEEENST_IJLi12ELi13EEEENST_IJLi14EEEES15_S16_S18_S17_NST_IJLi19ELi20EEEENST_IJLi21EEEEEEENST_IJLi19ELi21ELi20EEEElEENSB_INS5_IJSR_SP_SP_SR_SG_EEENS5_IJSU_SV_SW_SY_SX_EEENS5_IJNST_IJLi1ELi2EEEESX_SY_NST_IJLi5ELi6EEEES11_EEENST_IJLi5ELi7ELi6EEEElEENSB_INS5_IJSK_SP_SP_EEENS5_IJSU_SV_SW_EEENS5_IJS1M_SX_SY_EEENST_IJLi3ELi4EEEElEELi128ELi128ELi16ELi1ELi4ELi4ELi1ENST_IJLi8ELi2EEEES1W_NST_IJLi8ELi1ELi1ELi1EEEENST_IJLi2ELi1ELi128ELi1EEEENST_IJLi1ELi2ELi0ELi3EEEES1Z_NST_IJLi4ELi1ELi1ELi1EEEES1Z_NST_IJLi1ELi1ELi1ELi1EEEES1X_S1Y_S1Z_S1Z_S20_S1Z_S21_NST_IJLi0ELi1ELi2ELi3ELi4ELi5EEEELi5ELi4EEEfNS5_IJPKfEEEfS8_S8_S9_NSB_INS5_IJSE_SG_SI_SI_SG_SG_SK_SK_SG_SN_SN_SP_SP_SR_SG_SG_NSQ_INS5_IJiNS_17integral_constantIiLi128EEEEEELb0EEENSF_INS27_IiLi1EEEEEEEENS5_IJSU_SV_SW_SX_SY_SZ_S10_S11_S12_S13_S14_S15_S16_S17_S18_NST_IJLi19EEEES1G_NST_IJLi20EEEEEEENS5_IJS1A_SZ_S10_S11_S12_S1B_S1C_S1D_S1E_S15_S16_S18_S17_S1F_S1G_NST_IJLi22EEEENST_IJLi23ELi24EEEENST_IJLi25EEEEEEENST_IJLi22ELi23ELi24ELi25EEEElEENSB_INS5_IJSR_SP_SP_SR_SG_SG_S2A_S2C_EEENS5_IJSU_SV_SW_SY_SX_SZ_S11_S10_EEENS5_IJS1M_SX_SY_S1N_S11_S12_NST_IJLi9ELi10EEEENST_IJLi11EEEEEEENST_IJLi8ELi9ELi10ELi11EEEElEENS5_IJNSB_INS5_IJSK_SP_SP_NSQ_INS5_IJiNS27_IiLi2EEENS27_IiLi64EEEEEELb0EEES2X_EEENS5_IJSU_SV_SW_SX_SY_EEENS5_IJS1M_SX_SY_NST_IJLi5ELi6ELi7EEEENST_IJLi8ELi9ELi10EEEEEEENST_IJLi5ELi6ELi7ELi8ELi9ELi10EEEElEEEEES34_NS_31BlockToCTileMap_M00_N00_M01_N01ILi128ELi128ES1V_Lb0EEENS1_30ComputePtrOffsetOfStridedBatchILi1ELi1ELi1EvEELb0ELb0EEEvPKT0_S3C_T1_PT2_T3_T4_T5_iT6_T7_T8_T9_T10_T11_
	.p2align	8
	.type	_ZN2ck16tensor_operation6device12_GLOBAL__N_137kernel_grouped_conv_fwd_dl_multiple_dINS_32GridwiseGemmDlMultipleD_km_kn_mnILi256EffNS_5TupleIJfEEEfNS0_12element_wise11PassThroughES8_NS7_7AddReluELNS_25InMemoryDataOperationEnumE0ENS_16TensorDescriptorINS5_IJNS_5EmbedINS5_IJiiiiEEESD_Lb0EEENS_11PassThroughIiEENS_3PadIiiiLb0EEESI_SG_SG_NSC_INS5_IJiiEEESJ_Lb0EEESK_SG_NS_23Merge_v2_magic_divisionINS5_IJiiiEEEEESN_NS_8RightPadIiiLb0EEESP_NS_7UnMergeISJ_Lb0EEESG_EEENS5_IJNS_8SequenceIJLi0EEEENST_IJLi1EEEENST_IJLi2EEEENST_IJLi3EEEENST_IJLi4EEEENST_IJLi5EEEENST_IJLi6EEEENST_IJLi7EEEENST_IJLi8EEEENST_IJLi9ELi11ELi13EEEENST_IJLi10ELi12ELi14EEEENST_IJLi15EEEENST_IJLi16EEEENST_IJLi18EEEENST_IJLi17EEEEEEENS5_IJNST_IJLi1ELi2ELi3ELi4EEEESZ_S10_S11_S12_NST_IJLi9EEEENST_IJLi10ELi11EEEENST_IJLi12ELi13EEEENST_IJLi14EEEES15_S16_S18_S17_NST_IJLi19ELi20EEEENST_IJLi21EEEEEEENST_IJLi19ELi21ELi20EEEElEENSB_INS5_IJSR_SP_SP_SR_SG_EEENS5_IJSU_SV_SW_SY_SX_EEENS5_IJNST_IJLi1ELi2EEEESX_SY_NST_IJLi5ELi6EEEES11_EEENST_IJLi5ELi7ELi6EEEElEENSB_INS5_IJSK_SP_SP_EEENS5_IJSU_SV_SW_EEENS5_IJS1M_SX_SY_EEENST_IJLi3ELi4EEEElEELi128ELi128ELi16ELi1ELi4ELi4ELi1ENST_IJLi8ELi2EEEES1W_NST_IJLi8ELi1ELi1ELi1EEEENST_IJLi2ELi1ELi128ELi1EEEENST_IJLi1ELi2ELi0ELi3EEEES1Z_NST_IJLi4ELi1ELi1ELi1EEEES1Z_NST_IJLi1ELi1ELi1ELi1EEEES1X_S1Y_S1Z_S1Z_S20_S1Z_S21_NST_IJLi0ELi1ELi2ELi3ELi4ELi5EEEELi5ELi4EEEfNS5_IJPKfEEEfS8_S8_S9_NSB_INS5_IJSE_SG_SI_SI_SG_SG_SK_SK_SG_SN_SN_SP_SP_SR_SG_SG_NSQ_INS5_IJiNS_17integral_constantIiLi128EEEEEELb0EEENSF_INS27_IiLi1EEEEEEEENS5_IJSU_SV_SW_SX_SY_SZ_S10_S11_S12_S13_S14_S15_S16_S17_S18_NST_IJLi19EEEES1G_NST_IJLi20EEEEEEENS5_IJS1A_SZ_S10_S11_S12_S1B_S1C_S1D_S1E_S15_S16_S18_S17_S1F_S1G_NST_IJLi22EEEENST_IJLi23ELi24EEEENST_IJLi25EEEEEEENST_IJLi22ELi23ELi24ELi25EEEElEENSB_INS5_IJSR_SP_SP_SR_SG_SG_S2A_S2C_EEENS5_IJSU_SV_SW_SY_SX_SZ_S11_S10_EEENS5_IJS1M_SX_SY_S1N_S11_S12_NST_IJLi9ELi10EEEENST_IJLi11EEEEEEENST_IJLi8ELi9ELi10ELi11EEEElEENS5_IJNSB_INS5_IJSK_SP_SP_NSQ_INS5_IJiNS27_IiLi2EEENS27_IiLi64EEEEEELb0EEES2X_EEENS5_IJSU_SV_SW_SX_SY_EEENS5_IJS1M_SX_SY_NST_IJLi5ELi6ELi7EEEENST_IJLi8ELi9ELi10EEEEEEENST_IJLi5ELi6ELi7ELi8ELi9ELi10EEEElEEEEES34_NS_31BlockToCTileMap_M00_N00_M01_N01ILi128ELi128ES1V_Lb0EEENS1_30ComputePtrOffsetOfStridedBatchILi1ELi1ELi1EvEELb0ELb0EEEvPKT0_S3C_T1_PT2_T3_T4_T5_iT6_T7_T8_T9_T10_T11_,@function
_ZN2ck16tensor_operation6device12_GLOBAL__N_137kernel_grouped_conv_fwd_dl_multiple_dINS_32GridwiseGemmDlMultipleD_km_kn_mnILi256EffNS_5TupleIJfEEEfNS0_12element_wise11PassThroughES8_NS7_7AddReluELNS_25InMemoryDataOperationEnumE0ENS_16TensorDescriptorINS5_IJNS_5EmbedINS5_IJiiiiEEESD_Lb0EEENS_11PassThroughIiEENS_3PadIiiiLb0EEESI_SG_SG_NSC_INS5_IJiiEEESJ_Lb0EEESK_SG_NS_23Merge_v2_magic_divisionINS5_IJiiiEEEEESN_NS_8RightPadIiiLb0EEESP_NS_7UnMergeISJ_Lb0EEESG_EEENS5_IJNS_8SequenceIJLi0EEEENST_IJLi1EEEENST_IJLi2EEEENST_IJLi3EEEENST_IJLi4EEEENST_IJLi5EEEENST_IJLi6EEEENST_IJLi7EEEENST_IJLi8EEEENST_IJLi9ELi11ELi13EEEENST_IJLi10ELi12ELi14EEEENST_IJLi15EEEENST_IJLi16EEEENST_IJLi18EEEENST_IJLi17EEEEEEENS5_IJNST_IJLi1ELi2ELi3ELi4EEEESZ_S10_S11_S12_NST_IJLi9EEEENST_IJLi10ELi11EEEENST_IJLi12ELi13EEEENST_IJLi14EEEES15_S16_S18_S17_NST_IJLi19ELi20EEEENST_IJLi21EEEEEEENST_IJLi19ELi21ELi20EEEElEENSB_INS5_IJSR_SP_SP_SR_SG_EEENS5_IJSU_SV_SW_SY_SX_EEENS5_IJNST_IJLi1ELi2EEEESX_SY_NST_IJLi5ELi6EEEES11_EEENST_IJLi5ELi7ELi6EEEElEENSB_INS5_IJSK_SP_SP_EEENS5_IJSU_SV_SW_EEENS5_IJS1M_SX_SY_EEENST_IJLi3ELi4EEEElEELi128ELi128ELi16ELi1ELi4ELi4ELi1ENST_IJLi8ELi2EEEES1W_NST_IJLi8ELi1ELi1ELi1EEEENST_IJLi2ELi1ELi128ELi1EEEENST_IJLi1ELi2ELi0ELi3EEEES1Z_NST_IJLi4ELi1ELi1ELi1EEEES1Z_NST_IJLi1ELi1ELi1ELi1EEEES1X_S1Y_S1Z_S1Z_S20_S1Z_S21_NST_IJLi0ELi1ELi2ELi3ELi4ELi5EEEELi5ELi4EEEfNS5_IJPKfEEEfS8_S8_S9_NSB_INS5_IJSE_SG_SI_SI_SG_SG_SK_SK_SG_SN_SN_SP_SP_SR_SG_SG_NSQ_INS5_IJiNS_17integral_constantIiLi128EEEEEELb0EEENSF_INS27_IiLi1EEEEEEEENS5_IJSU_SV_SW_SX_SY_SZ_S10_S11_S12_S13_S14_S15_S16_S17_S18_NST_IJLi19EEEES1G_NST_IJLi20EEEEEEENS5_IJS1A_SZ_S10_S11_S12_S1B_S1C_S1D_S1E_S15_S16_S18_S17_S1F_S1G_NST_IJLi22EEEENST_IJLi23ELi24EEEENST_IJLi25EEEEEEENST_IJLi22ELi23ELi24ELi25EEEElEENSB_INS5_IJSR_SP_SP_SR_SG_SG_S2A_S2C_EEENS5_IJSU_SV_SW_SY_SX_SZ_S11_S10_EEENS5_IJS1M_SX_SY_S1N_S11_S12_NST_IJLi9ELi10EEEENST_IJLi11EEEEEEENST_IJLi8ELi9ELi10ELi11EEEElEENS5_IJNSB_INS5_IJSK_SP_SP_NSQ_INS5_IJiNS27_IiLi2EEENS27_IiLi64EEEEEELb0EEES2X_EEENS5_IJSU_SV_SW_SX_SY_EEENS5_IJS1M_SX_SY_NST_IJLi5ELi6ELi7EEEENST_IJLi8ELi9ELi10EEEEEEENST_IJLi5ELi6ELi7ELi8ELi9ELi10EEEElEEEEES34_NS_31BlockToCTileMap_M00_N00_M01_N01ILi128ELi128ES1V_Lb0EEENS1_30ComputePtrOffsetOfStridedBatchILi1ELi1ELi1EvEELb0ELb0EEEvPKT0_S3C_T1_PT2_T3_T4_T5_iT6_T7_T8_T9_T10_T11_: ; @_ZN2ck16tensor_operation6device12_GLOBAL__N_137kernel_grouped_conv_fwd_dl_multiple_dINS_32GridwiseGemmDlMultipleD_km_kn_mnILi256EffNS_5TupleIJfEEEfNS0_12element_wise11PassThroughES8_NS7_7AddReluELNS_25InMemoryDataOperationEnumE0ENS_16TensorDescriptorINS5_IJNS_5EmbedINS5_IJiiiiEEESD_Lb0EEENS_11PassThroughIiEENS_3PadIiiiLb0EEESI_SG_SG_NSC_INS5_IJiiEEESJ_Lb0EEESK_SG_NS_23Merge_v2_magic_divisionINS5_IJiiiEEEEESN_NS_8RightPadIiiLb0EEESP_NS_7UnMergeISJ_Lb0EEESG_EEENS5_IJNS_8SequenceIJLi0EEEENST_IJLi1EEEENST_IJLi2EEEENST_IJLi3EEEENST_IJLi4EEEENST_IJLi5EEEENST_IJLi6EEEENST_IJLi7EEEENST_IJLi8EEEENST_IJLi9ELi11ELi13EEEENST_IJLi10ELi12ELi14EEEENST_IJLi15EEEENST_IJLi16EEEENST_IJLi18EEEENST_IJLi17EEEEEEENS5_IJNST_IJLi1ELi2ELi3ELi4EEEESZ_S10_S11_S12_NST_IJLi9EEEENST_IJLi10ELi11EEEENST_IJLi12ELi13EEEENST_IJLi14EEEES15_S16_S18_S17_NST_IJLi19ELi20EEEENST_IJLi21EEEEEEENST_IJLi19ELi21ELi20EEEElEENSB_INS5_IJSR_SP_SP_SR_SG_EEENS5_IJSU_SV_SW_SY_SX_EEENS5_IJNST_IJLi1ELi2EEEESX_SY_NST_IJLi5ELi6EEEES11_EEENST_IJLi5ELi7ELi6EEEElEENSB_INS5_IJSK_SP_SP_EEENS5_IJSU_SV_SW_EEENS5_IJS1M_SX_SY_EEENST_IJLi3ELi4EEEElEELi128ELi128ELi16ELi1ELi4ELi4ELi1ENST_IJLi8ELi2EEEES1W_NST_IJLi8ELi1ELi1ELi1EEEENST_IJLi2ELi1ELi128ELi1EEEENST_IJLi1ELi2ELi0ELi3EEEES1Z_NST_IJLi4ELi1ELi1ELi1EEEES1Z_NST_IJLi1ELi1ELi1ELi1EEEES1X_S1Y_S1Z_S1Z_S20_S1Z_S21_NST_IJLi0ELi1ELi2ELi3ELi4ELi5EEEELi5ELi4EEEfNS5_IJPKfEEEfS8_S8_S9_NSB_INS5_IJSE_SG_SI_SI_SG_SG_SK_SK_SG_SN_SN_SP_SP_SR_SG_SG_NSQ_INS5_IJiNS_17integral_constantIiLi128EEEEEELb0EEENSF_INS27_IiLi1EEEEEEEENS5_IJSU_SV_SW_SX_SY_SZ_S10_S11_S12_S13_S14_S15_S16_S17_S18_NST_IJLi19EEEES1G_NST_IJLi20EEEEEEENS5_IJS1A_SZ_S10_S11_S12_S1B_S1C_S1D_S1E_S15_S16_S18_S17_S1F_S1G_NST_IJLi22EEEENST_IJLi23ELi24EEEENST_IJLi25EEEEEEENST_IJLi22ELi23ELi24ELi25EEEElEENSB_INS5_IJSR_SP_SP_SR_SG_SG_S2A_S2C_EEENS5_IJSU_SV_SW_SY_SX_SZ_S11_S10_EEENS5_IJS1M_SX_SY_S1N_S11_S12_NST_IJLi9ELi10EEEENST_IJLi11EEEEEEENST_IJLi8ELi9ELi10ELi11EEEElEENS5_IJNSB_INS5_IJSK_SP_SP_NSQ_INS5_IJiNS27_IiLi2EEENS27_IiLi64EEEEEELb0EEES2X_EEENS5_IJSU_SV_SW_SX_SY_EEENS5_IJS1M_SX_SY_NST_IJLi5ELi6ELi7EEEENST_IJLi8ELi9ELi10EEEEEEENST_IJLi5ELi6ELi7ELi8ELi9ELi10EEEElEEEEES34_NS_31BlockToCTileMap_M00_N00_M01_N01ILi128ELi128ES1V_Lb0EEENS1_30ComputePtrOffsetOfStridedBatchILi1ELi1ELi1EvEELb0ELb0EEEvPKT0_S3C_T1_PT2_T3_T4_T5_iT6_T7_T8_T9_T10_T11_
; %bb.0:
	s_load_dwordx8 s[8:15], s[4:5], 0x0
	s_load_dword s16, s[4:5], 0x24
	s_load_dwordx4 s[0:3], s[4:5], 0x38
	s_load_dwordx4 s[24:27], s[4:5], 0x4c
	s_load_dwordx2 s[44:45], s[4:5], 0x5c
	s_load_dwordx2 s[46:47], s[4:5], 0x74
	;; [unrolled: 1-line block ×9, first 2 shown]
	s_waitcnt lgkmcnt(0)
	s_abs_i32 s17, s16
	v_cvt_f32_u32_e32 v1, s17
	s_load_dword s68, s[4:5], 0x100
	s_load_dword s69, s[4:5], 0x128
	;; [unrolled: 1-line block ×7, first 2 shown]
	s_sub_i32 s19, 0, s17
	s_load_dword s66, s[4:5], 0x188
	s_load_dwordx2 s[34:35], s[4:5], 0x198
	s_load_dword s33, s[4:5], 0x1a4
	s_load_dword s62, s[4:5], 0x1b0
	;; [unrolled: 1-line block ×3, first 2 shown]
	v_rcp_iflag_f32_e32 v1, v1
	s_load_dword s72, s[4:5], 0x244
	s_load_dword s73, s[4:5], 0x254
	s_load_dwordx4 s[28:31], s[4:5], 0x260
	s_load_dwordx4 s[36:39], s[4:5], 0x274
	s_waitcnt lgkmcnt(0)
	s_xor_b32 s16, s18, s16
	s_abs_i32 s18, s18
	v_mul_f32_e32 v1, 0x4f7ffffe, v1
	v_cvt_u32_f32_e32 v1, v1
	s_ashr_i32 s16, s16, 31
	v_lshlrev_b32_e32 v2, 3, v0
	v_and_b32_e32 v23, 8, v2
	v_readfirstlane_b32 s20, v1
	s_mul_i32 s19, s19, s20
	s_mul_hi_u32 s19, s20, s19
	s_add_i32 s20, s20, s19
	s_mul_hi_u32 s19, s18, s20
	s_mul_i32 s20, s19, s17
	s_sub_i32 s18, s18, s20
	s_add_i32 s20, s19, 1
	s_sub_i32 s21, s18, s17
	s_cmp_ge_u32 s18, s17
	s_cselect_b32 s19, s20, s19
	s_cselect_b32 s18, s21, s18
	s_add_i32 s20, s19, 1
	s_cmp_ge_u32 s18, s17
	s_cselect_b32 s17, s20, s19
	s_xor_b32 s17, s17, s16
	s_sub_i32 s70, s17, s16
	s_abs_i32 s71, s70
	v_cvt_f32_u32_e32 v1, s71
	s_sub_i32 s75, 0, s71
	s_abs_i32 s74, s6
	s_xor_b32 s70, s6, s70
	v_rcp_iflag_f32_e32 v1, v1
	s_ashr_i32 s70, s70, 31
	s_load_dwordx4 s[40:43], s[4:5], 0x288
	s_load_dwordx8 s[16:23], s[4:5], 0x2a0
	v_mul_lo_u32 v25, s68, v23
	v_mul_f32_e32 v1, 0x4f7ffffe, v1
	v_cvt_u32_f32_e32 v1, v1
	v_mul_hi_u32 v2, v25, s55
	v_add_u32_e32 v2, v25, v2
	v_lshrrev_b32_e32 v3, s53, v2
	v_readfirstlane_b32 s76, v1
	s_mul_i32 s75, s75, s76
	s_mul_hi_u32 s75, s76, s75
	s_add_i32 s76, s76, s75
	s_mul_hi_u32 s75, s74, s76
	s_mul_i32 s76, s75, s71
	s_sub_i32 s74, s74, s76
	s_add_i32 s76, s75, 1
	s_sub_i32 s77, s74, s71
	s_cmp_ge_u32 s74, s71
	s_cselect_b32 s75, s76, s75
	s_cselect_b32 s74, s77, s74
	s_add_i32 s76, s75, 1
	s_cmp_ge_u32 s74, s71
	s_cselect_b32 s71, s76, s75
	s_xor_b32 s71, s71, s70
	s_sub_i32 s74, s71, s70
	s_ashr_i32 s75, s74, 31
	s_waitcnt lgkmcnt(0)
	s_mul_i32 s70, s16, s75
	s_mul_hi_u32 s71, s16, s74
	s_add_i32 s70, s71, s70
	s_mul_i32 s17, s17, s74
	s_add_i32 s71, s70, s17
	s_mul_i32 s70, s16, s74
	s_mul_i32 s16, s18, s75
	s_mul_hi_u32 s17, s18, s74
	s_add_i32 s16, s17, s16
	s_mul_i32 s17, s19, s74
	s_add_i32 s19, s16, s17
	s_mul_i32 s16, s22, s75
	s_mul_hi_u32 s17, s22, s74
	s_add_i32 s16, s17, s16
	s_mul_i32 s17, s23, s74
	s_add_i32 s23, s16, s17
	;; [unrolled: 5-line block ×3, first 2 shown]
	s_mul_i32 s16, s20, s74
	s_lshl_b64 s[16:17], s[16:17], 2
	s_add_u32 s16, s12, s16
	s_addc_u32 s17, s13, s17
	s_lshl_b64 s[12:13], s[70:71], 2
	s_mul_i32 s18, s18, s74
	s_add_u32 s12, s8, s12
	s_addc_u32 s13, s9, s13
	s_lshl_b64 s[8:9], s[18:19], 2
	s_mul_i32 s22, s22, s74
	s_add_u32 s20, s10, s8
	s_addc_u32 s21, s11, s9
	s_lshl_b64 s[8:9], s[22:23], 2
	s_add_u32 s8, s14, s8
	s_mul_hi_u32 s10, s39, s6
	s_addc_u32 s9, s15, s9
	s_add_i32 s10, s6, s10
	s_lshr_b32 s10, s10, s43
	s_mul_i32 s11, s10, s31
	s_sub_i32 s6, s6, s11
	s_mul_hi_u32 s11, s10, s38
	s_add_i32 s11, s10, s11
	s_lshr_b32 s11, s11, s42
	s_mul_i32 s14, s11, s30
	s_sub_i32 s10, s10, s14
	s_mul_hi_u32 s14, s11, s37
	;; [unrolled: 5-line block ×3, first 2 shown]
	s_add_i32 s15, s14, s15
	s_lshr_b32 s15, s15, s40
	s_mul_i32 s15, s15, s28
	s_sub_i32 s14, s14, s15
	s_mul_i32 s14, s14, s72
	v_mul_hi_u32 v4, v3, s54
	s_add_i32 s10, s10, s14
	v_add_u32_e32 v4, v3, v4
	v_lshrrev_b32_e32 v1, 1, v0
	s_lshl_b32 s10, s10, 7
	v_lshrrev_b32_e32 v10, s52, v4
	v_or_b32_e32 v24, s10, v1
	v_mul_lo_u32 v4, v10, s50
	v_mul_lo_u32 v2, v3, s51
	v_sub_u32_e32 v6, v3, v4
	v_mul_hi_u32 v3, v24, s61
	v_add_u32_e32 v3, v24, v3
	v_lshrrev_b32_e32 v3, s59, v3
	v_mul_lo_u32 v4, v3, s57
	v_sub_u32_e32 v5, v24, v4
	v_mul_hi_u32 v4, v3, s60
	v_add_u32_e32 v4, v3, v4
	v_lshrrev_b32_e32 v7, s58, v4
	v_mul_lo_u32 v4, v7, s56
	v_sub_u32_e32 v3, v3, v4
	v_mul_lo_u32 v4, v6, s48
	v_mad_u64_u32 v[18:19], s[14:15], v5, s49, v[4:5]
	v_mul_lo_u32 v4, v10, s46
	v_mad_u64_u32 v[20:21], s[14:15], v3, s47, v[4:5]
	v_sub_u32_e32 v2, v25, v2
	v_subrev_u32_e32 v4, s25, v20
	v_subrev_u32_e32 v3, s44, v18
	v_mul_lo_u32 v8, v4, s1
	v_mul_lo_u32 v4, v2, s3
	;; [unrolled: 1-line block ×3, first 2 shown]
	v_mad_u64_u32 v[4:5], s[14:15], v3, s2, v[4:5]
	v_add3_u32 v11, v4, v7, v8
	v_or_b32_e32 v4, 4, v23
	v_mul_lo_u32 v21, s68, v4
	v_mul_hi_u32 v4, v21, s55
	v_add_u32_e32 v4, v21, v4
	v_lshrrev_b32_e32 v12, s53, v4
	v_lshlrev_b32_e32 v3, 2, v11
	v_mul_hi_u32 v7, v12, s54
	s_lshl_b32 s14, s69, 2
	s_mov_b32 s15, 0x20000
	v_mad_u64_u32 v[8:9], s[18:19], v12, s51, v[2:3]
	v_add_u32_e32 v7, v12, v7
	buffer_load_dwordx4 v[2:5], v3, s[12:15], 0 offen
	v_lshrrev_b32_e32 v9, s52, v7
	v_mad_u64_u32 v[6:7], s[18:19], v9, s50, v[6:7]
	v_sub_u32_e32 v6, v12, v6
	v_sub_u32_e32 v7, v9, v10
	s_mul_i32 s11, s11, s73
	v_sub_u32_e32 v8, v21, v8
	v_mul_lo_u32 v26, v6, s48
	v_mul_lo_u32 v27, v7, s46
	s_add_i32 s6, s6, s11
	v_mul_lo_u32 v6, v27, s1
	v_mul_lo_u32 v7, v26, s2
	;; [unrolled: 1-line block ×3, first 2 shown]
	s_lshl_b32 s11, s6, 7
	v_add3_u32 v6, v6, v8, v7
	v_or_b32_e32 v19, s11, v1
	v_add_lshl_u32 v6, v6, v11, 2
	buffer_load_dwordx4 v[6:9], v6, s[12:15], 0 offen
	v_mul_lo_u32 v22, s7, v23
	v_mad_u64_u32 v[14:15], s[0:1], v19, s67, v[22:23]
	s_lshl_b32 s22, s66, 2
	s_mov_b32 s23, s15
	v_lshlrev_b32_e32 v10, 2, v14
	buffer_load_dwordx4 v[10:13], v10, s[20:23], 0 offen
	s_lshl_b32 s12, s7, 2
	v_add_lshl_u32 v14, v14, s12, 2
	buffer_load_dwordx4 v[14:17], v14, s[20:23], 0 offen
	s_load_dword s0, s[4:5], 0xe4
	s_load_dword s13, s[4:5], 0xf0
	s_sub_i32 s14, s27, s45
	v_cmp_le_i32_e64 s[2:3], s44, v18
	v_cmp_gt_i32_e64 s[6:7], s14, v18
	v_lshrrev_b32_e32 v28, 5, v0
	v_lshlrev_b32_e32 v30, 1, v0
	s_waitcnt lgkmcnt(0)
	v_cmp_gt_i32_e32 vcc, s13, v25
	s_and_b64 s[2:3], s[2:3], s[6:7]
	s_sub_i32 s18, s24, s26
	v_lshlrev_b32_e32 v29, 6, v28
	v_and_b32_e32 v31, 0x1f8, v30
	s_and_b64 s[6:7], vcc, s[2:3]
	v_cmp_le_i32_e32 vcc, s25, v20
	v_cmp_gt_i32_e64 s[2:3], s18, v20
	v_sub_u32_e32 v29, v31, v29
	v_lshlrev_b32_e32 v0, 2, v0
	s_and_b64 s[2:3], vcc, s[2:3]
	v_and_or_b32 v64, v0, 4, v29
	v_and_b32_e32 v0, 0x1fc, v30
	v_cmp_gt_i32_e64 s[0:1], s0, v24
	s_and_b64 s[2:3], s[6:7], s[2:3]
	v_sub_u32_e32 v0, v0, v31
	s_and_b64 vcc, s[0:1], s[2:3]
	v_lshl_add_u32 v65, v28, 3, v0
	v_lshlrev_b32_e32 v1, 2, v1
	v_lshl_or_b32 v1, v23, 9, v1
	v_lshlrev_b32_e32 v66, 2, v65
	v_lshlrev_b32_e32 v67, 2, v64
	v_mov_b32_e32 v24, 0
	v_mov_b32_e32 v25, 0
	;; [unrolled: 1-line block ×23, first 2 shown]
	s_waitcnt vmcnt(3)
	v_cndmask_b32_e32 v0, 0, v5, vcc
	v_add_u32_e32 v5, v18, v26
	v_cmp_le_i32_e64 s[2:3], s44, v5
	v_cmp_gt_i32_e64 s[6:7], s14, v5
	v_cndmask_b32_e32 v4, 0, v4, vcc
	v_cndmask_b32_e32 v3, 0, v3, vcc
	v_cndmask_b32_e32 v2, 0, v2, vcc
	v_add_u32_e32 v18, v20, v27
	v_cmp_gt_i32_e32 vcc, s13, v21
	s_and_b64 s[2:3], s[2:3], s[6:7]
	s_and_b64 s[6:7], vcc, s[2:3]
	v_cmp_le_i32_e32 vcc, s25, v18
	v_cmp_gt_i32_e64 s[2:3], s18, v18
	s_and_b64 s[2:3], vcc, s[2:3]
	s_and_b64 s[2:3], s[6:7], s[2:3]
	s_and_b64 vcc, s[0:1], s[2:3]
	v_cmp_gt_i32_e64 s[0:1], s65, v19
	v_mov_b32_e32 v18, 0
	s_waitcnt vmcnt(2)
	v_cndmask_b32_e32 v5, 0, v9, vcc
	v_cndmask_b32_e32 v8, 0, v8, vcc
	;; [unrolled: 1-line block ×4, first 2 shown]
	v_cmp_gt_i32_e32 vcc, s64, v22
	s_and_b64 vcc, vcc, s[0:1]
	v_mov_b32_e32 v19, 0
	s_waitcnt vmcnt(1)
	v_cndmask_b32_e32 v9, 0, v13, vcc
	v_add_u32_e32 v13, s12, v22
	v_cndmask_b32_e32 v12, 0, v12, vcc
	v_cndmask_b32_e32 v11, 0, v11, vcc
	;; [unrolled: 1-line block ×3, first 2 shown]
	v_cmp_gt_i32_e32 vcc, s64, v13
	s_and_b64 vcc, vcc, s[0:1]
	s_waitcnt vmcnt(0)
	v_cndmask_b32_e32 v13, 0, v17, vcc
	v_cndmask_b32_e32 v16, 0, v16, vcc
	v_cndmask_b32_e32 v15, 0, v15, vcc
	v_cndmask_b32_e32 v14, 0, v14, vcc
	ds_write2st64_b32 v1, v2, v3 offset1:2
	ds_write2st64_b32 v1, v4, v0 offset0:4 offset1:6
	ds_write2st64_b32 v1, v6, v7 offset0:8 offset1:10
	;; [unrolled: 1-line block ×7, first 2 shown]
	s_waitcnt lgkmcnt(0)
	s_barrier
	ds_read_b128 v[30:33], v66
	ds_read_b128 v[52:55], v67 offset:16384
	ds_read_b128 v[68:71], v67 offset:16640
	;; [unrolled: 1-line block ×3, first 2 shown]
	v_mov_b32_e32 v0, 0
	v_mov_b32_e32 v1, 0
	;; [unrolled: 1-line block ×23, first 2 shown]
	s_waitcnt lgkmcnt(2)
	;;#ASMSTART
	
             v_fmac_f32 v0, v30, v52 
             
	;;#ASMEND
	;;#ASMSTART
	
             v_fmac_f32 v1, v30, v53 
             
	;;#ASMEND
	;; [unrolled: 5-line block ×16, first 2 shown]
	s_waitcnt lgkmcnt(1)
	;;#ASMSTART
	
             v_fmac_f32 v4, v30, v68 
             
	;;#ASMEND
	;;#ASMSTART
	
             v_fmac_f32 v5, v30, v69 
             
	;;#ASMEND
	;; [unrolled: 5-line block ×16, first 2 shown]
	v_mov_b32_e32 v30, 0
	v_mov_b32_e32 v31, 0
	;; [unrolled: 1-line block ×4, first 2 shown]
	ds_read_b128 v[76:79], v66 offset:512
	s_waitcnt lgkmcnt(1)
	;;#ASMSTART
	
             v_fmac_f32 v46, v72, v52 
             
	;;#ASMEND
	;;#ASMSTART
	
             v_fmac_f32 v47, v72, v53 
             
	;;#ASMEND
	;; [unrolled: 5-line block ×16, first 2 shown]
	v_mov_b32_e32 v59, 0
	v_mov_b32_e32 v52, 0
	;; [unrolled: 1-line block ×12, first 2 shown]
	ds_read_b128 v[80:83], v67 offset:16896
	;;#ASMSTART
	
             v_fmac_f32 v56, v72, v68 
             
	;;#ASMEND
	;;#ASMSTART
	
             v_fmac_f32 v57, v72, v69 
             
	;;#ASMEND
	;; [unrolled: 5-line block ×16, first 2 shown]
	ds_read_b128 v[68:71], v67 offset:17152
	ds_read_b128 v[72:75], v66 offset:768
	s_waitcnt lgkmcnt(2)
	;;#ASMSTART
	
             v_fmac_f32 v0, v76, v80 
             
	;;#ASMEND
	;;#ASMSTART
	
             v_fmac_f32 v1, v76, v81 
             
	;;#ASMEND
	;; [unrolled: 5-line block ×16, first 2 shown]
	s_waitcnt lgkmcnt(1)
	;;#ASMSTART
	
             v_fmac_f32 v4, v76, v68 
             
	;;#ASMEND
	;;#ASMSTART
	
             v_fmac_f32 v5, v76, v69 
             
	;;#ASMEND
	;; [unrolled: 5-line block ×16, first 2 shown]
	ds_read_b128 v[76:79], v66 offset:1024
	s_waitcnt lgkmcnt(1)
	;;#ASMSTART
	
             v_fmac_f32 v46, v72, v80 
             
	;;#ASMEND
	;;#ASMSTART
	
             v_fmac_f32 v47, v72, v81 
             
	;;#ASMEND
	;; [unrolled: 5-line block ×16, first 2 shown]
	ds_read_b128 v[80:83], v67 offset:17408
	;;#ASMSTART
	
             v_fmac_f32 v56, v72, v68 
             
	;;#ASMEND
	;;#ASMSTART
	
             v_fmac_f32 v57, v72, v69 
             
	;;#ASMEND
	;; [unrolled: 5-line block ×16, first 2 shown]
	ds_read_b128 v[68:71], v67 offset:17664
	ds_read_b128 v[72:75], v66 offset:1280
	s_waitcnt lgkmcnt(2)
	;;#ASMSTART
	
             v_fmac_f32 v0, v76, v80 
             
	;;#ASMEND
	;;#ASMSTART
	
             v_fmac_f32 v1, v76, v81 
             
	;;#ASMEND
	;; [unrolled: 5-line block ×16, first 2 shown]
	s_waitcnt lgkmcnt(1)
	;;#ASMSTART
	
             v_fmac_f32 v4, v76, v68 
             
	;;#ASMEND
	;;#ASMSTART
	
             v_fmac_f32 v5, v76, v69 
             
	;;#ASMEND
	;; [unrolled: 5-line block ×16, first 2 shown]
	ds_read_b128 v[76:79], v66 offset:1536
	s_waitcnt lgkmcnt(1)
	;;#ASMSTART
	
             v_fmac_f32 v46, v72, v80 
             
	;;#ASMEND
	;;#ASMSTART
	
             v_fmac_f32 v47, v72, v81 
             
	;;#ASMEND
	;; [unrolled: 5-line block ×16, first 2 shown]
	ds_read_b128 v[80:83], v67 offset:17920
	;;#ASMSTART
	
             v_fmac_f32 v56, v72, v68 
             
	;;#ASMEND
	;;#ASMSTART
	
             v_fmac_f32 v57, v72, v69 
             
	;;#ASMEND
	;; [unrolled: 5-line block ×16, first 2 shown]
	ds_read_b128 v[68:71], v67 offset:18176
	ds_read_b128 v[72:75], v66 offset:1792
	s_waitcnt lgkmcnt(2)
	;;#ASMSTART
	
             v_fmac_f32 v0, v76, v80 
             
	;;#ASMEND
	;;#ASMSTART
	
             v_fmac_f32 v1, v76, v81 
             
	;;#ASMEND
	;; [unrolled: 5-line block ×16, first 2 shown]
	s_waitcnt lgkmcnt(1)
	;;#ASMSTART
	
             v_fmac_f32 v4, v76, v68 
             
	;;#ASMEND
	;;#ASMSTART
	
             v_fmac_f32 v5, v76, v69 
             
	;;#ASMEND
	;; [unrolled: 5-line block ×16, first 2 shown]
	ds_read_b128 v[76:79], v66 offset:2048
	s_waitcnt lgkmcnt(1)
	;;#ASMSTART
	
             v_fmac_f32 v46, v72, v80 
             
	;;#ASMEND
	;;#ASMSTART
	
             v_fmac_f32 v47, v72, v81 
             
	;;#ASMEND
	;;#ASMSTART
	
             v_fmac_f32 v50, v72, v82 
             
	;;#ASMEND
	;;#ASMSTART
	
             v_fmac_f32 v51, v72, v83 
             
	;;#ASMEND
	;;#ASMSTART
	
             v_fmac_f32 v40, v73, v80 
             
	;;#ASMEND
	;;#ASMSTART
	
             v_fmac_f32 v41, v73, v81 
             
	;;#ASMEND
	;;#ASMSTART
	
             v_fmac_f32 v42, v73, v82 
             
	;;#ASMEND
	;;#ASMSTART
	
             v_fmac_f32 v43, v73, v83 
             
	;;#ASMEND
	;;#ASMSTART
	
             v_fmac_f32 v34, v74, v80 
             
	;;#ASMEND
	;;#ASMSTART
	
             v_fmac_f32 v35, v74, v81 
             
	;;#ASMEND
	;;#ASMSTART
	
             v_fmac_f32 v36, v74, v82 
             
	;;#ASMEND
	;;#ASMSTART
	
             v_fmac_f32 v37, v74, v83 
             
	;;#ASMEND
	;;#ASMSTART
	
             v_fmac_f32 v30, v75, v80 
             
	;;#ASMEND
	;;#ASMSTART
	
             v_fmac_f32 v31, v75, v81 
             
	;;#ASMEND
	;;#ASMSTART
	
             v_fmac_f32 v32, v75, v82 
             
	;;#ASMEND
	;;#ASMSTART
	
             v_fmac_f32 v33, v75, v83 
             
	;;#ASMEND
	ds_read_b128 v[80:83], v67 offset:18432
	;;#ASMSTART
	
             v_fmac_f32 v56, v72, v68 
             
	;;#ASMEND
	;;#ASMSTART
	
             v_fmac_f32 v57, v72, v69 
             
	;;#ASMEND
	;;#ASMSTART
	
             v_fmac_f32 v58, v72, v70 
             
	;;#ASMEND
	;;#ASMSTART
	
             v_fmac_f32 v59, v72, v71 
             
	;;#ASMEND
	;;#ASMSTART
	
             v_fmac_f32 v52, v73, v68 
             
	;;#ASMEND
	;;#ASMSTART
	
             v_fmac_f32 v53, v73, v69 
             
	;;#ASMEND
	;;#ASMSTART
	
             v_fmac_f32 v54, v73, v70 
             
	;;#ASMEND
	;;#ASMSTART
	
             v_fmac_f32 v55, v73, v71 
             
	;;#ASMEND
	;;#ASMSTART
	
             v_fmac_f32 v44, v74, v68 
             
	;;#ASMEND
	;;#ASMSTART
	
             v_fmac_f32 v45, v74, v69 
             
	;;#ASMEND
	;;#ASMSTART
	
             v_fmac_f32 v48, v74, v70 
             
	;;#ASMEND
	;;#ASMSTART
	
             v_fmac_f32 v49, v74, v71 
             
	;;#ASMEND
	;;#ASMSTART
	
             v_fmac_f32 v38, v75, v68 
             
	;;#ASMEND
	;;#ASMSTART
	
             v_fmac_f32 v39, v75, v69 
             
	;;#ASMEND
	;;#ASMSTART
	
             v_fmac_f32 v28, v75, v70 
             
	;;#ASMEND
	;;#ASMSTART
	
             v_fmac_f32 v29, v75, v71 
             
	;;#ASMEND
	ds_read_b128 v[68:71], v67 offset:18688
	ds_read_b128 v[72:75], v66 offset:2304
	s_waitcnt lgkmcnt(2)
	;;#ASMSTART
	
             v_fmac_f32 v0, v76, v80 
             
	;;#ASMEND
	;;#ASMSTART
	
             v_fmac_f32 v1, v76, v81 
             
	;;#ASMEND
	;; [unrolled: 5-line block ×16, first 2 shown]
	s_waitcnt lgkmcnt(1)
	;;#ASMSTART
	
             v_fmac_f32 v4, v76, v68 
             
	;;#ASMEND
	;;#ASMSTART
	
             v_fmac_f32 v5, v76, v69 
             
	;;#ASMEND
	;; [unrolled: 5-line block ×16, first 2 shown]
	ds_read_b128 v[76:79], v66 offset:2560
	s_waitcnt lgkmcnt(1)
	;;#ASMSTART
	
             v_fmac_f32 v46, v72, v80 
             
	;;#ASMEND
	;;#ASMSTART
	
             v_fmac_f32 v47, v72, v81 
             
	;;#ASMEND
	;; [unrolled: 5-line block ×16, first 2 shown]
	ds_read_b128 v[80:83], v67 offset:18944
	;;#ASMSTART
	
             v_fmac_f32 v56, v72, v68 
             
	;;#ASMEND
	;;#ASMSTART
	
             v_fmac_f32 v57, v72, v69 
             
	;;#ASMEND
	;; [unrolled: 5-line block ×16, first 2 shown]
	ds_read_b128 v[68:71], v67 offset:19200
	ds_read_b128 v[72:75], v66 offset:2816
	s_waitcnt lgkmcnt(2)
	;;#ASMSTART
	
             v_fmac_f32 v0, v76, v80 
             
	;;#ASMEND
	;;#ASMSTART
	
             v_fmac_f32 v1, v76, v81 
             
	;;#ASMEND
	;; [unrolled: 5-line block ×16, first 2 shown]
	s_waitcnt lgkmcnt(1)
	;;#ASMSTART
	
             v_fmac_f32 v4, v76, v68 
             
	;;#ASMEND
	;;#ASMSTART
	
             v_fmac_f32 v5, v76, v69 
             
	;;#ASMEND
	;; [unrolled: 5-line block ×16, first 2 shown]
	ds_read_b128 v[76:79], v66 offset:3072
	s_waitcnt lgkmcnt(1)
	;;#ASMSTART
	
             v_fmac_f32 v46, v72, v80 
             
	;;#ASMEND
	;;#ASMSTART
	
             v_fmac_f32 v47, v72, v81 
             
	;;#ASMEND
	;; [unrolled: 5-line block ×16, first 2 shown]
	ds_read_b128 v[80:83], v67 offset:19456
	;;#ASMSTART
	
             v_fmac_f32 v56, v72, v68 
             
	;;#ASMEND
	;;#ASMSTART
	
             v_fmac_f32 v57, v72, v69 
             
	;;#ASMEND
	;; [unrolled: 5-line block ×16, first 2 shown]
	ds_read_b128 v[68:71], v67 offset:19712
	ds_read_b128 v[72:75], v66 offset:3328
	s_waitcnt lgkmcnt(2)
	;;#ASMSTART
	
             v_fmac_f32 v0, v76, v80 
             
	;;#ASMEND
	;;#ASMSTART
	
             v_fmac_f32 v1, v76, v81 
             
	;;#ASMEND
	;; [unrolled: 5-line block ×16, first 2 shown]
	s_waitcnt lgkmcnt(1)
	;;#ASMSTART
	
             v_fmac_f32 v4, v76, v68 
             
	;;#ASMEND
	;;#ASMSTART
	
             v_fmac_f32 v5, v76, v69 
             
	;;#ASMEND
	;; [unrolled: 5-line block ×16, first 2 shown]
	ds_read_b128 v[76:79], v66 offset:3584
	s_waitcnt lgkmcnt(1)
	;;#ASMSTART
	
             v_fmac_f32 v46, v72, v80 
             
	;;#ASMEND
	;;#ASMSTART
	
             v_fmac_f32 v47, v72, v81 
             
	;;#ASMEND
	;; [unrolled: 5-line block ×16, first 2 shown]
	ds_read_b128 v[80:83], v67 offset:19968
	;;#ASMSTART
	
             v_fmac_f32 v56, v72, v68 
             
	;;#ASMEND
	;;#ASMSTART
	
             v_fmac_f32 v57, v72, v69 
             
	;;#ASMEND
	;; [unrolled: 5-line block ×16, first 2 shown]
	ds_read_b128 v[68:71], v67 offset:20224
	ds_read_b128 v[72:75], v66 offset:3840
	s_waitcnt lgkmcnt(2)
	;;#ASMSTART
	
             v_fmac_f32 v0, v76, v80 
             
	;;#ASMEND
	;;#ASMSTART
	
             v_fmac_f32 v1, v76, v81 
             
	;;#ASMEND
	;; [unrolled: 5-line block ×16, first 2 shown]
	s_waitcnt lgkmcnt(1)
	;;#ASMSTART
	
             v_fmac_f32 v4, v76, v68 
             
	;;#ASMEND
	;;#ASMSTART
	
             v_fmac_f32 v5, v76, v69 
             
	;;#ASMEND
	;; [unrolled: 5-line block ×16, first 2 shown]
	ds_read_b128 v[76:79], v66 offset:4096
	s_waitcnt lgkmcnt(1)
	;;#ASMSTART
	
             v_fmac_f32 v46, v72, v80 
             
	;;#ASMEND
	;;#ASMSTART
	
             v_fmac_f32 v47, v72, v81 
             
	;;#ASMEND
	;; [unrolled: 5-line block ×16, first 2 shown]
	ds_read_b128 v[80:83], v67 offset:20480
	;;#ASMSTART
	
             v_fmac_f32 v56, v72, v68 
             
	;;#ASMEND
	;;#ASMSTART
	
             v_fmac_f32 v57, v72, v69 
             
	;;#ASMEND
	;; [unrolled: 5-line block ×16, first 2 shown]
	ds_read_b128 v[68:71], v67 offset:20736
	ds_read_b128 v[72:75], v66 offset:4352
	s_waitcnt lgkmcnt(2)
	;;#ASMSTART
	
             v_fmac_f32 v0, v76, v80 
             
	;;#ASMEND
	;;#ASMSTART
	
             v_fmac_f32 v1, v76, v81 
             
	;;#ASMEND
	;; [unrolled: 5-line block ×16, first 2 shown]
	s_waitcnt lgkmcnt(1)
	;;#ASMSTART
	
             v_fmac_f32 v4, v76, v68 
             
	;;#ASMEND
	;;#ASMSTART
	
             v_fmac_f32 v5, v76, v69 
             
	;;#ASMEND
	;; [unrolled: 5-line block ×16, first 2 shown]
	ds_read_b128 v[76:79], v66 offset:4608
	s_waitcnt lgkmcnt(1)
	;;#ASMSTART
	
             v_fmac_f32 v46, v72, v80 
             
	;;#ASMEND
	;;#ASMSTART
	
             v_fmac_f32 v47, v72, v81 
             
	;;#ASMEND
	;; [unrolled: 5-line block ×16, first 2 shown]
	ds_read_b128 v[80:83], v67 offset:20992
	;;#ASMSTART
	
             v_fmac_f32 v56, v72, v68 
             
	;;#ASMEND
	;;#ASMSTART
	
             v_fmac_f32 v57, v72, v69 
             
	;;#ASMEND
	;; [unrolled: 5-line block ×16, first 2 shown]
	ds_read_b128 v[68:71], v67 offset:21248
	ds_read_b128 v[72:75], v66 offset:4864
	s_waitcnt lgkmcnt(2)
	;;#ASMSTART
	
             v_fmac_f32 v0, v76, v80 
             
	;;#ASMEND
	;;#ASMSTART
	
             v_fmac_f32 v1, v76, v81 
             
	;;#ASMEND
	;; [unrolled: 5-line block ×16, first 2 shown]
	s_waitcnt lgkmcnt(1)
	;;#ASMSTART
	
             v_fmac_f32 v4, v76, v68 
             
	;;#ASMEND
	;;#ASMSTART
	
             v_fmac_f32 v5, v76, v69 
             
	;;#ASMEND
	;; [unrolled: 5-line block ×16, first 2 shown]
	ds_read_b128 v[76:79], v66 offset:5120
	s_waitcnt lgkmcnt(1)
	;;#ASMSTART
	
             v_fmac_f32 v46, v72, v80 
             
	;;#ASMEND
	;;#ASMSTART
	
             v_fmac_f32 v47, v72, v81 
             
	;;#ASMEND
	;; [unrolled: 5-line block ×16, first 2 shown]
	ds_read_b128 v[80:83], v67 offset:21504
	;;#ASMSTART
	
             v_fmac_f32 v56, v72, v68 
             
	;;#ASMEND
	;;#ASMSTART
	
             v_fmac_f32 v57, v72, v69 
             
	;;#ASMEND
	;; [unrolled: 5-line block ×16, first 2 shown]
	ds_read_b128 v[68:71], v67 offset:21760
	ds_read_b128 v[72:75], v66 offset:5376
	s_waitcnt lgkmcnt(2)
	;;#ASMSTART
	
             v_fmac_f32 v0, v76, v80 
             
	;;#ASMEND
	;;#ASMSTART
	
             v_fmac_f32 v1, v76, v81 
             
	;;#ASMEND
	;; [unrolled: 5-line block ×16, first 2 shown]
	s_waitcnt lgkmcnt(1)
	;;#ASMSTART
	
             v_fmac_f32 v4, v76, v68 
             
	;;#ASMEND
	;;#ASMSTART
	
             v_fmac_f32 v5, v76, v69 
             
	;;#ASMEND
	;; [unrolled: 5-line block ×16, first 2 shown]
	ds_read_b128 v[76:79], v66 offset:5632
	s_waitcnt lgkmcnt(1)
	;;#ASMSTART
	
             v_fmac_f32 v46, v72, v80 
             
	;;#ASMEND
	;;#ASMSTART
	
             v_fmac_f32 v47, v72, v81 
             
	;;#ASMEND
	;; [unrolled: 5-line block ×16, first 2 shown]
	ds_read_b128 v[80:83], v67 offset:22016
	;;#ASMSTART
	
             v_fmac_f32 v56, v72, v68 
             
	;;#ASMEND
	;;#ASMSTART
	
             v_fmac_f32 v57, v72, v69 
             
	;;#ASMEND
	;; [unrolled: 5-line block ×16, first 2 shown]
	ds_read_b128 v[68:71], v67 offset:22272
	ds_read_b128 v[72:75], v66 offset:5888
	s_waitcnt lgkmcnt(2)
	;;#ASMSTART
	
             v_fmac_f32 v0, v76, v80 
             
	;;#ASMEND
	;;#ASMSTART
	
             v_fmac_f32 v1, v76, v81 
             
	;;#ASMEND
	;; [unrolled: 5-line block ×16, first 2 shown]
	s_waitcnt lgkmcnt(1)
	;;#ASMSTART
	
             v_fmac_f32 v4, v76, v68 
             
	;;#ASMEND
	;;#ASMSTART
	
             v_fmac_f32 v5, v76, v69 
             
	;;#ASMEND
	;; [unrolled: 5-line block ×16, first 2 shown]
	ds_read_b128 v[76:79], v66 offset:6144
	s_waitcnt lgkmcnt(1)
	;;#ASMSTART
	
             v_fmac_f32 v46, v72, v80 
             
	;;#ASMEND
	;;#ASMSTART
	
             v_fmac_f32 v47, v72, v81 
             
	;;#ASMEND
	;;#ASMSTART
	
             v_fmac_f32 v50, v72, v82 
             
	;;#ASMEND
	;;#ASMSTART
	
             v_fmac_f32 v51, v72, v83 
             
	;;#ASMEND
	;;#ASMSTART
	
             v_fmac_f32 v40, v73, v80 
             
	;;#ASMEND
	;;#ASMSTART
	
             v_fmac_f32 v41, v73, v81 
             
	;;#ASMEND
	;;#ASMSTART
	
             v_fmac_f32 v42, v73, v82 
             
	;;#ASMEND
	;;#ASMSTART
	
             v_fmac_f32 v43, v73, v83 
             
	;;#ASMEND
	;;#ASMSTART
	
             v_fmac_f32 v34, v74, v80 
             
	;;#ASMEND
	;;#ASMSTART
	
             v_fmac_f32 v35, v74, v81 
             
	;;#ASMEND
	;;#ASMSTART
	
             v_fmac_f32 v36, v74, v82 
             
	;;#ASMEND
	;;#ASMSTART
	
             v_fmac_f32 v37, v74, v83 
             
	;;#ASMEND
	;;#ASMSTART
	
             v_fmac_f32 v30, v75, v80 
             
	;;#ASMEND
	;;#ASMSTART
	
             v_fmac_f32 v31, v75, v81 
             
	;;#ASMEND
	;;#ASMSTART
	
             v_fmac_f32 v32, v75, v82 
             
	;;#ASMEND
	;;#ASMSTART
	
             v_fmac_f32 v33, v75, v83 
             
	;;#ASMEND
	ds_read_b128 v[80:83], v67 offset:22528
	;;#ASMSTART
	
             v_fmac_f32 v56, v72, v68 
             
	;;#ASMEND
	;;#ASMSTART
	
             v_fmac_f32 v57, v72, v69 
             
	;;#ASMEND
	;; [unrolled: 5-line block ×16, first 2 shown]
	ds_read_b128 v[68:71], v67 offset:22784
	ds_read_b128 v[72:75], v66 offset:6400
	s_waitcnt lgkmcnt(2)
	;;#ASMSTART
	
             v_fmac_f32 v0, v76, v80 
             
	;;#ASMEND
	;;#ASMSTART
	
             v_fmac_f32 v1, v76, v81 
             
	;;#ASMEND
	;;#ASMSTART
	
             v_fmac_f32 v2, v76, v82 
             
	;;#ASMEND
	;;#ASMSTART
	
             v_fmac_f32 v3, v76, v83 
             
	;;#ASMEND
	;;#ASMSTART
	
             v_fmac_f32 v8, v77, v80 
             
	;;#ASMEND
	;;#ASMSTART
	
             v_fmac_f32 v9, v77, v81 
             
	;;#ASMEND
	;;#ASMSTART
	
             v_fmac_f32 v10, v77, v82 
             
	;;#ASMEND
	;;#ASMSTART
	
             v_fmac_f32 v11, v77, v83 
             
	;;#ASMEND
	;;#ASMSTART
	
             v_fmac_f32 v18, v78, v80 
             
	;;#ASMEND
	;;#ASMSTART
	
             v_fmac_f32 v19, v78, v81 
             
	;;#ASMEND
	;;#ASMSTART
	
             v_fmac_f32 v16, v78, v82 
             
	;;#ASMEND
	;;#ASMSTART
	
             v_fmac_f32 v17, v78, v83 
             
	;;#ASMEND
	;;#ASMSTART
	
             v_fmac_f32 v24, v79, v80 
             
	;;#ASMEND
	;;#ASMSTART
	
             v_fmac_f32 v25, v79, v81 
             
	;;#ASMEND
	;;#ASMSTART
	
             v_fmac_f32 v26, v79, v82 
             
	;;#ASMEND
	;;#ASMSTART
	
             v_fmac_f32 v27, v79, v83 
             
	;;#ASMEND
	s_waitcnt lgkmcnt(1)
	;;#ASMSTART
	
             v_fmac_f32 v4, v76, v68 
             
	;;#ASMEND
	;;#ASMSTART
	
             v_fmac_f32 v5, v76, v69 
             
	;;#ASMEND
	;; [unrolled: 5-line block ×16, first 2 shown]
	ds_read_b128 v[76:79], v66 offset:6656
	s_waitcnt lgkmcnt(1)
	;;#ASMSTART
	
             v_fmac_f32 v46, v72, v80 
             
	;;#ASMEND
	;;#ASMSTART
	
             v_fmac_f32 v47, v72, v81 
             
	;;#ASMEND
	;; [unrolled: 5-line block ×16, first 2 shown]
	ds_read_b128 v[80:83], v67 offset:23040
	;;#ASMSTART
	
             v_fmac_f32 v56, v72, v68 
             
	;;#ASMEND
	;;#ASMSTART
	
             v_fmac_f32 v57, v72, v69 
             
	;;#ASMEND
	;; [unrolled: 5-line block ×16, first 2 shown]
	ds_read_b128 v[68:71], v67 offset:23296
	ds_read_b128 v[72:75], v66 offset:6912
	s_waitcnt lgkmcnt(2)
	;;#ASMSTART
	
             v_fmac_f32 v0, v76, v80 
             
	;;#ASMEND
	;;#ASMSTART
	
             v_fmac_f32 v1, v76, v81 
             
	;;#ASMEND
	;; [unrolled: 5-line block ×16, first 2 shown]
	s_waitcnt lgkmcnt(1)
	;;#ASMSTART
	
             v_fmac_f32 v4, v76, v68 
             
	;;#ASMEND
	;;#ASMSTART
	
             v_fmac_f32 v5, v76, v69 
             
	;;#ASMEND
	;; [unrolled: 5-line block ×16, first 2 shown]
	ds_read_b128 v[76:79], v66 offset:7168
	s_waitcnt lgkmcnt(1)
	;;#ASMSTART
	
             v_fmac_f32 v46, v72, v80 
             
	;;#ASMEND
	;;#ASMSTART
	
             v_fmac_f32 v47, v72, v81 
             
	;;#ASMEND
	;; [unrolled: 5-line block ×16, first 2 shown]
	ds_read_b128 v[80:83], v67 offset:23552
	;;#ASMSTART
	
             v_fmac_f32 v56, v72, v68 
             
	;;#ASMEND
	;;#ASMSTART
	
             v_fmac_f32 v57, v72, v69 
             
	;;#ASMEND
	;; [unrolled: 5-line block ×16, first 2 shown]
	ds_read_b128 v[68:71], v67 offset:23808
	ds_read_b128 v[72:75], v66 offset:7424
	s_waitcnt lgkmcnt(2)
	;;#ASMSTART
	
             v_fmac_f32 v0, v76, v80 
             
	;;#ASMEND
	;;#ASMSTART
	
             v_fmac_f32 v1, v76, v81 
             
	;;#ASMEND
	;; [unrolled: 5-line block ×16, first 2 shown]
	s_waitcnt lgkmcnt(1)
	;;#ASMSTART
	
             v_fmac_f32 v4, v76, v68 
             
	;;#ASMEND
	;;#ASMSTART
	
             v_fmac_f32 v5, v76, v69 
             
	;;#ASMEND
	;; [unrolled: 5-line block ×16, first 2 shown]
	ds_read_b128 v[76:79], v66 offset:7680
	s_waitcnt lgkmcnt(1)
	;;#ASMSTART
	
             v_fmac_f32 v46, v72, v80 
             
	;;#ASMEND
	;;#ASMSTART
	
             v_fmac_f32 v47, v72, v81 
             
	;;#ASMEND
	;; [unrolled: 5-line block ×16, first 2 shown]
	ds_read_b128 v[80:83], v67 offset:24064
	;;#ASMSTART
	
             v_fmac_f32 v56, v72, v68 
             
	;;#ASMEND
	;;#ASMSTART
	
             v_fmac_f32 v57, v72, v69 
             
	;;#ASMEND
	;; [unrolled: 5-line block ×16, first 2 shown]
	ds_read_b128 v[68:71], v67 offset:24320
	ds_read_b128 v[72:75], v66 offset:7936
	v_add_u32_e32 v65, s10, v65
	v_add_u32_e32 v64, s11, v64
	v_mul_lo_u32 v66, v65, s34
	s_waitcnt lgkmcnt(2)
	;;#ASMSTART
	
             v_fmac_f32 v0, v76, v80 
             
	;;#ASMEND
	;;#ASMSTART
	
             v_fmac_f32 v1, v76, v81 
             
	;;#ASMEND
	;; [unrolled: 5-line block ×16, first 2 shown]
	s_waitcnt lgkmcnt(1)
	;;#ASMSTART
	
             v_fmac_f32 v4, v76, v68 
             
	;;#ASMEND
	;;#ASMSTART
	
             v_fmac_f32 v5, v76, v69 
             
	;;#ASMEND
	;; [unrolled: 5-line block ×16, first 2 shown]
	s_waitcnt lgkmcnt(0)
	;;#ASMSTART
	
             v_fmac_f32 v46, v72, v80 
             
	;;#ASMEND
	;;#ASMSTART
	
             v_fmac_f32 v47, v72, v81 
             
	;;#ASMEND
	;; [unrolled: 5-line block ×32, first 2 shown]
	v_mad_u64_u32 v[74:75], s[0:1], v64, s35, v[66:67]
	s_lshl_b32 s18, s63, 2
	s_mov_b32 s19, s15
	v_lshlrev_b32_e32 v66, 2, v74
	buffer_load_dwordx4 v[66:69], v66, s[16:19], 0 offen
	s_lshl_b32 s10, s35, 6
	v_add_lshl_u32 v70, v74, s10, 2
	buffer_load_dwordx4 v[70:73], v70, s[16:19], 0 offen
	v_add_u32_e32 v82, s34, v74
	v_lshlrev_b32_e32 v74, 2, v82
	buffer_load_dwordx4 v[74:77], v74, s[16:19], 0 offen
	v_add_lshl_u32 v78, v82, s10, 2
	buffer_load_dwordx4 v[78:81], v78, s[16:19], 0 offen
	v_add_u32_e32 v90, s34, v82
	v_lshlrev_b32_e32 v82, 2, v90
	buffer_load_dwordx4 v[82:85], v82, s[16:19], 0 offen
	v_cmp_gt_i32_e32 vcc, s62, v64
	v_cmp_gt_i32_e64 s[2:3], s33, v65
	v_add_lshl_u32 v86, v90, s10, 2
	buffer_load_dwordx4 v[86:89], v86, s[16:19], 0 offen
	s_and_b64 s[0:1], s[2:3], vcc
	v_add_u32_e32 v100, 64, v64
	v_add_u32_e32 v90, s34, v90
	v_or_b32_e32 v101, 1, v65
	s_load_dwordx2 s[6:7], s[4:5], 0x1e8
	s_load_dword s12, s[4:5], 0x1f4
	s_load_dword s13, s[4:5], 0x200
	;; [unrolled: 1-line block ×3, first 2 shown]
	v_or_b32_e32 v102, 2, v65
	v_or_b32_e32 v103, 3, v65
	v_add_u32_e32 v104, 64, v65
	s_waitcnt lgkmcnt(0)
	s_lshl_b32 s14, s7, 6
	s_waitcnt vmcnt(5)
	v_cndmask_b32_e64 v69, 0, v69, s[0:1]
	v_cndmask_b32_e64 v68, 0, v68, s[0:1]
	;; [unrolled: 1-line block ×4, first 2 shown]
	v_cmp_gt_i32_e64 s[0:1], s62, v100
	v_pk_add_f32 v[0:1], v[0:1], v[66:67]
	v_lshlrev_b32_e32 v66, 2, v90
	s_and_b64 s[2:3], s[2:3], s[0:1]
	v_pk_add_f32 v[2:3], v[2:3], v[68:69]
	buffer_load_dwordx4 v[66:69], v66, s[16:19], 0 offen
	s_waitcnt vmcnt(5)
	v_cndmask_b32_e64 v73, 0, v73, s[2:3]
	v_cndmask_b32_e64 v72, 0, v72, s[2:3]
	;; [unrolled: 1-line block ×4, first 2 shown]
	v_cmp_gt_i32_e64 s[2:3], s33, v101
	v_pk_add_f32 v[4:5], v[4:5], v[70:71]
	v_add_lshl_u32 v70, v90, s10, 2
	s_and_b64 s[4:5], s[2:3], vcc
	v_pk_add_f32 v[6:7], v[6:7], v[72:73]
	buffer_load_dwordx4 v[70:73], v70, s[16:19], 0 offen
	s_waitcnt vmcnt(5)
	v_cndmask_b32_e64 v77, 0, v77, s[4:5]
	v_cndmask_b32_e64 v76, 0, v76, s[4:5]
	v_cndmask_b32_e64 v75, 0, v75, s[4:5]
	v_cndmask_b32_e64 v74, 0, v74, s[4:5]
	v_mad_u64_u32 v[90:91], s[4:5], s34, 61, v[90:91]
	v_pk_add_f32 v[8:9], v[8:9], v[74:75]
	v_lshlrev_b32_e32 v74, 2, v90
	v_pk_add_f32 v[10:11], v[10:11], v[76:77]
	buffer_load_dwordx4 v[74:77], v74, s[16:19], 0 offen
	s_and_b64 s[2:3], s[2:3], s[0:1]
	s_waitcnt vmcnt(5)
	v_cndmask_b32_e64 v79, 0, v79, s[2:3]
	v_cndmask_b32_e64 v78, 0, v78, s[2:3]
	;; [unrolled: 1-line block ×4, first 2 shown]
	v_pk_add_f32 v[12:13], v[12:13], v[78:79]
	v_add_lshl_u32 v78, v90, s10, 2
	v_cmp_gt_i32_e64 s[2:3], s33, v102
	v_pk_add_f32 v[14:15], v[14:15], v[80:81]
	buffer_load_dwordx4 v[78:81], v78, s[16:19], 0 offen
	s_and_b64 s[4:5], s[2:3], vcc
	s_waitcnt vmcnt(5)
	v_cndmask_b32_e64 v83, 0, v83, s[4:5]
	v_cndmask_b32_e64 v82, 0, v82, s[4:5]
	v_add_u32_e32 v96, s34, v90
	v_cndmask_b32_e64 v93, 0, v85, s[4:5]
	v_cndmask_b32_e64 v92, 0, v84, s[4:5]
	v_pk_add_f32 v[94:95], v[18:19], v[82:83]
	v_lshlrev_b32_e32 v18, 2, v96
	s_and_b64 s[2:3], s[2:3], s[0:1]
	buffer_load_dwordx4 v[82:85], v18, s[16:19], 0 offen
	v_pk_add_f32 v[16:17], v[16:17], v[92:93]
	s_waitcnt vmcnt(5)
	v_cndmask_b32_e64 v93, 0, v89, s[2:3]
	v_cndmask_b32_e64 v92, 0, v88, s[2:3]
	;; [unrolled: 1-line block ×3, first 2 shown]
	v_add_lshl_u32 v88, v96, s10, 2
	v_cndmask_b32_e64 v86, 0, v86, s[2:3]
	v_cmp_gt_i32_e64 s[2:3], s33, v103
	buffer_load_dwordx4 v[88:91], v88, s[16:19], 0 offen
	v_pk_add_f32 v[20:21], v[20:21], v[86:87]
	v_add_u32_e32 v86, s34, v96
	s_and_b64 s[4:5], s[2:3], vcc
	v_lshlrev_b32_e32 v87, 2, v86
	v_max_f32_e32 v19, 0, v17
	v_max_f32_e32 v18, 0, v16
	;; [unrolled: 1-line block ×4, first 2 shown]
	v_pk_add_f32 v[22:23], v[22:23], v[92:93]
	buffer_load_dwordx4 v[92:95], v87, s[16:19], 0 offen
	s_and_b64 s[2:3], s[2:3], s[0:1]
	v_add_u32_e32 v98, s34, v86
	v_max_f32_e32 v3, 0, v3
	v_max_f32_e32 v2, 0, v2
	;; [unrolled: 1-line block ×19, first 2 shown]
	s_waitcnt vmcnt(6)
	v_cndmask_b32_e64 v67, 0, v67, s[4:5]
	v_cndmask_b32_e64 v66, 0, v66, s[4:5]
	;; [unrolled: 1-line block ×4, first 2 shown]
	v_pk_add_f32 v[24:25], v[24:25], v[66:67]
	v_add_lshl_u32 v66, v86, s10, 2
	v_pk_add_f32 v[26:27], v[26:27], v[68:69]
	buffer_load_dwordx4 v[66:69], v66, s[16:19], 0 offen
	v_max_f32_e32 v20, 0, v20
	v_max_f32_e32 v27, 0, v27
	s_waitcnt vmcnt(6)
	v_cndmask_b32_e64 v73, 0, v73, s[2:3]
	v_cndmask_b32_e64 v72, 0, v72, s[2:3]
	;; [unrolled: 1-line block ×4, first 2 shown]
	v_cmp_gt_i32_e64 s[2:3], s33, v104
	v_pk_add_f32 v[60:61], v[60:61], v[70:71]
	v_lshlrev_b32_e32 v70, 2, v98
	s_and_b64 s[4:5], s[2:3], vcc
	v_pk_add_f32 v[62:63], v[62:63], v[72:73]
	buffer_load_dwordx4 v[70:73], v70, s[16:19], 0 offen
	s_waitcnt vmcnt(6)
	v_cndmask_b32_e64 v96, 0, v74, s[4:5]
	v_add_lshl_u32 v74, v98, s10, 2
	v_cndmask_b32_e64 v87, 0, v77, s[4:5]
	v_cndmask_b32_e64 v86, 0, v76, s[4:5]
	;; [unrolled: 1-line block ×3, first 2 shown]
	buffer_load_dwordx4 v[74:77], v74, s[16:19], 0 offen
	v_pk_add_f32 v[50:51], v[50:51], v[86:87]
	s_and_b64 s[2:3], s[2:3], s[0:1]
	v_pk_add_f32 v[46:47], v[46:47], v[96:97]
	v_max_f32_e32 v98, 0, v50
	s_waitcnt vmcnt(6)
	v_cndmask_b32_e64 v50, 0, v78, s[2:3]
	v_add_u32_e32 v78, 0x41, v65
	v_max_f32_e32 v99, 0, v51
	v_max_f32_e32 v97, 0, v47
	;; [unrolled: 1-line block ×3, first 2 shown]
	v_cndmask_b32_e64 v47, 0, v81, s[2:3]
	v_cndmask_b32_e64 v46, 0, v80, s[2:3]
	;; [unrolled: 1-line block ×3, first 2 shown]
	v_cmp_gt_i32_e64 s[2:3], s33, v78
	v_pk_add_f32 v[50:51], v[56:57], v[50:51]
	v_pk_add_f32 v[46:47], v[58:59], v[46:47]
	s_and_b64 s[4:5], s[2:3], vcc
	v_max_f32_e32 v59, 0, v47
	v_max_f32_e32 v58, 0, v46
	;; [unrolled: 1-line block ×4, first 2 shown]
	s_waitcnt vmcnt(5)
	v_cndmask_b32_e64 v47, 0, v85, s[4:5]
	v_cndmask_b32_e64 v46, 0, v84, s[4:5]
	;; [unrolled: 1-line block ×4, first 2 shown]
	s_and_b64 s[2:3], s[2:3], s[0:1]
	v_add_u32_e32 v79, 0x42, v65
	v_pk_add_f32 v[40:41], v[40:41], v[50:51]
	v_pk_add_f32 v[42:43], v[42:43], v[46:47]
	s_waitcnt vmcnt(4)
	v_cndmask_b32_e64 v47, 0, v91, s[2:3]
	v_cndmask_b32_e64 v46, 0, v90, s[2:3]
	;; [unrolled: 1-line block ×4, first 2 shown]
	v_cmp_gt_i32_e64 s[2:3], s33, v79
	v_pk_add_f32 v[46:47], v[54:55], v[46:47]
	s_and_b64 s[4:5], s[2:3], vcc
	v_pk_add_f32 v[50:51], v[52:53], v[50:51]
	v_max_f32_e32 v53, 0, v47
	v_max_f32_e32 v52, 0, v46
	s_waitcnt vmcnt(3)
	v_cndmask_b32_e64 v47, 0, v95, s[4:5]
	v_cndmask_b32_e64 v46, 0, v94, s[4:5]
	;; [unrolled: 1-line block ×4, first 2 shown]
	s_and_b64 s[2:3], s[2:3], s[0:1]
	v_add_u32_e32 v80, 0x43, v65
	v_pk_add_f32 v[34:35], v[34:35], v[54:55]
	v_pk_add_f32 v[36:37], v[36:37], v[46:47]
	s_lshl_b32 s10, s11, 2
	s_mov_b32 s11, s15
	v_max_f32_e32 v63, 0, v63
	v_max_f32_e32 v62, 0, v62
	v_max_f32_e32 v61, 0, v61
	v_max_f32_e32 v60, 0, v60
	v_max_f32_e32 v26, 0, v26
	v_max_f32_e32 v25, 0, v25
	v_max_f32_e32 v24, 0, v24
	v_max_f32_e32 v37, 0, v37
	v_max_f32_e32 v36, 0, v36
	v_max_f32_e32 v35, 0, v35
	v_max_f32_e32 v34, 0, v34
	v_max_f32_e32 v43, 0, v43
	v_max_f32_e32 v42, 0, v42
	s_waitcnt vmcnt(2)
	v_cndmask_b32_e64 v47, 0, v69, s[2:3]
	v_cndmask_b32_e64 v46, 0, v68, s[2:3]
	;; [unrolled: 1-line block ×4, first 2 shown]
	v_cmp_gt_i32_e64 s[2:3], s33, v80
	s_and_b64 vcc, s[2:3], vcc
	v_pk_add_f32 v[44:45], v[44:45], v[54:55]
	v_pk_add_f32 v[46:47], v[48:49], v[46:47]
	v_max_f32_e32 v47, 0, v47
	v_max_f32_e32 v46, 0, v46
	;; [unrolled: 1-line block ×4, first 2 shown]
	s_waitcnt vmcnt(1)
	v_cndmask_b32_e32 v49, 0, v73, vcc
	v_cndmask_b32_e32 v48, 0, v72, vcc
	;; [unrolled: 1-line block ×4, first 2 shown]
	s_and_b64 vcc, s[2:3], s[0:1]
	v_pk_add_f32 v[32:33], v[32:33], v[48:49]
	s_waitcnt vmcnt(0)
	v_cndmask_b32_e32 v49, 0, v77, vcc
	v_cndmask_b32_e32 v48, 0, v76, vcc
	v_pk_add_f32 v[28:29], v[28:29], v[48:49]
	v_max_f32_e32 v68, 0, v28
	v_mul_lo_u32 v28, v65, s6
	v_max_f32_e32 v69, 0, v29
	v_mad_u64_u32 v[28:29], s[0:1], v64, s7, v[28:29]
	v_pk_add_f32 v[30:31], v[30:31], v[54:55]
	v_cndmask_b32_e32 v55, 0, v75, vcc
	v_cndmask_b32_e32 v54, 0, v74, vcc
	v_cmp_gt_i32_e32 vcc, s13, v64
	v_cmp_gt_i32_e64 s[0:1], s12, v65
	v_pk_add_f32 v[38:39], v[38:39], v[54:55]
	v_bfrev_b32_e32 v29, 1
	s_and_b64 s[2:3], s[0:1], vcc
	v_max_f32_e32 v66, 0, v38
	v_cndmask_b32_e64 v38, v29, 0, s[2:3]
	v_cmp_gt_i32_e64 s[2:3], s13, v100
	v_lshl_add_u32 v38, v28, 2, v38
	s_and_b64 s[0:1], s[0:1], s[2:3]
	buffer_store_dwordx4 v[0:3], v38, s[8:11], 0 offen
	s_lshl_b32 s13, s6, 8
	v_add_u32_e32 v0, s14, v28
	v_cndmask_b32_e64 v1, v29, 0, s[0:1]
	v_cmp_gt_i32_e64 s[0:1], s12, v101
	v_lshl_add_u32 v1, v0, 2, v1
	s_and_b64 s[4:5], s[0:1], s[2:3]
	buffer_store_dwordx4 v[4:7], v1, s[8:11], 0 offen
	v_add_u32_e32 v0, s6, v0
	v_cndmask_b32_e64 v1, v29, 0, s[4:5]
	v_lshl_add_u32 v1, v0, 2, v1
	s_and_b64 s[0:1], s[0:1], vcc
	buffer_store_dwordx4 v[12:15], v1, s[8:11], 0 offen
	v_add_u32_e32 v1, s6, v28
	v_cndmask_b32_e64 v2, v29, 0, s[0:1]
	v_cmp_gt_i32_e64 s[0:1], s12, v102
	v_lshl_add_u32 v2, v1, 2, v2
	s_and_b64 s[4:5], s[0:1], vcc
	buffer_store_dwordx4 v[8:11], v2, s[8:11], 0 offen
	v_add_u32_e32 v1, s6, v1
	v_cndmask_b32_e64 v2, v29, 0, s[4:5]
	v_lshl_add_u32 v1, v1, 2, v2
	s_and_b64 s[0:1], s[0:1], s[2:3]
	buffer_store_dwordx4 v[16:19], v1, s[8:11], 0 offen
	v_add_u32_e32 v0, s6, v0
	v_cndmask_b32_e64 v1, v29, 0, s[0:1]
	v_cmp_gt_i32_e64 s[0:1], s12, v103
	v_lshl_add_u32 v1, v0, 2, v1
	s_and_b64 s[4:5], s[0:1], s[2:3]
	buffer_store_dwordx4 v[20:23], v1, s[8:11], 0 offen
	v_add_u32_e32 v0, s6, v0
	v_cndmask_b32_e64 v1, v29, 0, s[4:5]
	v_lshl_add_u32 v1, v0, 2, v1
	v_subrev_u32_e32 v0, s14, v0
	s_and_b64 s[0:1], s[0:1], vcc
	buffer_store_dwordx4 v[60:63], v1, s[8:11], 0 offen
	v_lshlrev_b32_e32 v1, 2, v0
	v_cndmask_b32_e64 v2, v29, 0, s[0:1]
	v_cmp_gt_i32_e64 s[0:1], s12, v80
	v_add_u32_e32 v2, v1, v2
	s_and_b64 s[4:5], s[0:1], vcc
	buffer_store_dwordx4 v[24:27], v2, s[8:11], 0 offen
	v_cndmask_b32_e64 v2, v29, 0, s[4:5]
	v_max_f32_e32 v33, 0, v33
	v_max_f32_e32 v32, 0, v32
	;; [unrolled: 1-line block ×4, first 2 shown]
	v_add3_u32 v1, v2, s13, v1
	s_add_i32 s4, s7, s6
	s_and_b64 s[0:1], s[0:1], s[2:3]
	buffer_store_dwordx4 v[30:33], v1, s[8:11], 0 offen
	v_lshl_add_u32 v0, s4, 6, v0
	v_cndmask_b32_e64 v1, v29, 0, s[0:1]
	v_cmp_ge_i32_e64 s[0:1], s12, v80
	v_max_f32_e32 v67, 0, v39
	v_lshl_add_u32 v1, v0, 2, v1
	s_and_b64 s[0:1], s[0:1], s[2:3]
	buffer_store_dwordx4 v[66:69], v1, s[8:11], 0 offen
	v_subrev_u32_e32 v0, s6, v0
	v_cndmask_b32_e64 v1, v29, 0, s[0:1]
	v_cmp_gt_i32_e64 s[0:1], s12, v79
	v_lshl_add_u32 v1, v0, 2, v1
	s_and_b64 s[0:1], s[0:1], vcc
	buffer_store_dwordx4 v[44:47], v1, s[8:11], 0 offen
	v_subrev_u32_e32 v0, s14, v0
	v_cndmask_b32_e64 v1, v29, 0, s[0:1]
	v_cmp_ge_i32_e64 s[0:1], s12, v79
	v_lshl_add_u32 v1, v0, 2, v1
	s_and_b64 s[0:1], s[0:1], vcc
	buffer_store_dwordx4 v[34:37], v1, s[8:11], 0 offen
	v_subrev_u32_e32 v0, s6, v0
	v_cndmask_b32_e64 v1, v29, 0, s[0:1]
	v_cmp_gt_i32_e64 s[0:1], s12, v78
	v_max_f32_e32 v41, 0, v41
	v_max_f32_e32 v40, 0, v40
	v_lshl_add_u32 v1, v0, 2, v1
	s_and_b64 s[0:1], s[0:1], s[2:3]
	buffer_store_dwordx4 v[40:43], v1, s[8:11], 0 offen
	v_add_u32_e32 v0, s14, v0
	v_cndmask_b32_e64 v1, v29, 0, s[0:1]
	v_cmp_ge_i32_e64 s[0:1], s12, v78
	v_max_f32_e32 v51, 0, v51
	v_max_f32_e32 v50, 0, v50
	v_lshl_add_u32 v1, v0, 2, v1
	v_subrev_u32_e32 v0, s6, v0
	s_and_b64 s[0:1], s[0:1], s[2:3]
	buffer_store_dwordx4 v[50:53], v1, s[8:11], 0 offen
	v_lshlrev_b32_e32 v0, 2, v0
	v_cndmask_b32_e64 v1, v29, 0, s[0:1]
	v_cmp_gt_i32_e64 s[0:1], s12, v104
	v_add_u32_e32 v1, v0, v1
	s_and_b64 s[0:1], s[0:1], vcc
	buffer_store_dwordx4 v[56:59], v1, s[8:11], 0 offen
	v_cndmask_b32_e64 v1, v29, 0, s[0:1]
	s_lshl_b32 s0, s7, 8
	v_subrev_u32_e32 v1, s0, v1
	v_add_u32_e32 v0, v1, v0
	buffer_store_dwordx4 v[96:99], v0, s[8:11], 0 offen
	s_endpgm
	.section	.rodata,"a",@progbits
	.p2align	6, 0x0
	.amdhsa_kernel _ZN2ck16tensor_operation6device12_GLOBAL__N_137kernel_grouped_conv_fwd_dl_multiple_dINS_32GridwiseGemmDlMultipleD_km_kn_mnILi256EffNS_5TupleIJfEEEfNS0_12element_wise11PassThroughES8_NS7_7AddReluELNS_25InMemoryDataOperationEnumE0ENS_16TensorDescriptorINS5_IJNS_5EmbedINS5_IJiiiiEEESD_Lb0EEENS_11PassThroughIiEENS_3PadIiiiLb0EEESI_SG_SG_NSC_INS5_IJiiEEESJ_Lb0EEESK_SG_NS_23Merge_v2_magic_divisionINS5_IJiiiEEEEESN_NS_8RightPadIiiLb0EEESP_NS_7UnMergeISJ_Lb0EEESG_EEENS5_IJNS_8SequenceIJLi0EEEENST_IJLi1EEEENST_IJLi2EEEENST_IJLi3EEEENST_IJLi4EEEENST_IJLi5EEEENST_IJLi6EEEENST_IJLi7EEEENST_IJLi8EEEENST_IJLi9ELi11ELi13EEEENST_IJLi10ELi12ELi14EEEENST_IJLi15EEEENST_IJLi16EEEENST_IJLi18EEEENST_IJLi17EEEEEEENS5_IJNST_IJLi1ELi2ELi3ELi4EEEESZ_S10_S11_S12_NST_IJLi9EEEENST_IJLi10ELi11EEEENST_IJLi12ELi13EEEENST_IJLi14EEEES15_S16_S18_S17_NST_IJLi19ELi20EEEENST_IJLi21EEEEEEENST_IJLi19ELi21ELi20EEEElEENSB_INS5_IJSR_SP_SP_SR_SG_EEENS5_IJSU_SV_SW_SY_SX_EEENS5_IJNST_IJLi1ELi2EEEESX_SY_NST_IJLi5ELi6EEEES11_EEENST_IJLi5ELi7ELi6EEEElEENSB_INS5_IJSK_SP_SP_EEENS5_IJSU_SV_SW_EEENS5_IJS1M_SX_SY_EEENST_IJLi3ELi4EEEElEELi128ELi128ELi16ELi1ELi4ELi4ELi1ENST_IJLi8ELi2EEEES1W_NST_IJLi8ELi1ELi1ELi1EEEENST_IJLi2ELi1ELi128ELi1EEEENST_IJLi1ELi2ELi0ELi3EEEES1Z_NST_IJLi4ELi1ELi1ELi1EEEES1Z_NST_IJLi1ELi1ELi1ELi1EEEES1X_S1Y_S1Z_S1Z_S20_S1Z_S21_NST_IJLi0ELi1ELi2ELi3ELi4ELi5EEEELi5ELi4EEEfNS5_IJPKfEEEfS8_S8_S9_NSB_INS5_IJSE_SG_SI_SI_SG_SG_SK_SK_SG_SN_SN_SP_SP_SR_SG_SG_NSQ_INS5_IJiNS_17integral_constantIiLi128EEEEEELb0EEENSF_INS27_IiLi1EEEEEEEENS5_IJSU_SV_SW_SX_SY_SZ_S10_S11_S12_S13_S14_S15_S16_S17_S18_NST_IJLi19EEEES1G_NST_IJLi20EEEEEEENS5_IJS1A_SZ_S10_S11_S12_S1B_S1C_S1D_S1E_S15_S16_S18_S17_S1F_S1G_NST_IJLi22EEEENST_IJLi23ELi24EEEENST_IJLi25EEEEEEENST_IJLi22ELi23ELi24ELi25EEEElEENSB_INS5_IJSR_SP_SP_SR_SG_SG_S2A_S2C_EEENS5_IJSU_SV_SW_SY_SX_SZ_S11_S10_EEENS5_IJS1M_SX_SY_S1N_S11_S12_NST_IJLi9ELi10EEEENST_IJLi11EEEEEEENST_IJLi8ELi9ELi10ELi11EEEElEENS5_IJNSB_INS5_IJSK_SP_SP_NSQ_INS5_IJiNS27_IiLi2EEENS27_IiLi64EEEEEELb0EEES2X_EEENS5_IJSU_SV_SW_SX_SY_EEENS5_IJS1M_SX_SY_NST_IJLi5ELi6ELi7EEEENST_IJLi8ELi9ELi10EEEEEEENST_IJLi5ELi6ELi7ELi8ELi9ELi10EEEElEEEEES34_NS_31BlockToCTileMap_M00_N00_M01_N01ILi128ELi128ES1V_Lb0EEENS1_30ComputePtrOffsetOfStridedBatchILi1ELi1ELi1EvEELb0ELb0EEEvPKT0_S3C_T1_PT2_T3_T4_T5_iT6_T7_T8_T9_T10_T11_
		.amdhsa_group_segment_fixed_size 32768
		.amdhsa_private_segment_fixed_size 0
		.amdhsa_kernarg_size 968
		.amdhsa_user_sgpr_count 6
		.amdhsa_user_sgpr_private_segment_buffer 1
		.amdhsa_user_sgpr_dispatch_ptr 0
		.amdhsa_user_sgpr_queue_ptr 0
		.amdhsa_user_sgpr_kernarg_segment_ptr 1
		.amdhsa_user_sgpr_dispatch_id 0
		.amdhsa_user_sgpr_flat_scratch_init 0
		.amdhsa_user_sgpr_kernarg_preload_length 0
		.amdhsa_user_sgpr_kernarg_preload_offset 0
		.amdhsa_user_sgpr_private_segment_size 0
		.amdhsa_uses_dynamic_stack 0
		.amdhsa_system_sgpr_private_segment_wavefront_offset 0
		.amdhsa_system_sgpr_workgroup_id_x 1
		.amdhsa_system_sgpr_workgroup_id_y 0
		.amdhsa_system_sgpr_workgroup_id_z 0
		.amdhsa_system_sgpr_workgroup_info 0
		.amdhsa_system_vgpr_workitem_id 0
		.amdhsa_next_free_vgpr 105
		.amdhsa_next_free_sgpr 78
		.amdhsa_accum_offset 108
		.amdhsa_reserve_vcc 1
		.amdhsa_reserve_flat_scratch 0
		.amdhsa_float_round_mode_32 0
		.amdhsa_float_round_mode_16_64 0
		.amdhsa_float_denorm_mode_32 3
		.amdhsa_float_denorm_mode_16_64 3
		.amdhsa_dx10_clamp 1
		.amdhsa_ieee_mode 1
		.amdhsa_fp16_overflow 0
		.amdhsa_tg_split 0
		.amdhsa_exception_fp_ieee_invalid_op 0
		.amdhsa_exception_fp_denorm_src 0
		.amdhsa_exception_fp_ieee_div_zero 0
		.amdhsa_exception_fp_ieee_overflow 0
		.amdhsa_exception_fp_ieee_underflow 0
		.amdhsa_exception_fp_ieee_inexact 0
		.amdhsa_exception_int_div_zero 0
	.end_amdhsa_kernel
	.section	.text._ZN2ck16tensor_operation6device12_GLOBAL__N_137kernel_grouped_conv_fwd_dl_multiple_dINS_32GridwiseGemmDlMultipleD_km_kn_mnILi256EffNS_5TupleIJfEEEfNS0_12element_wise11PassThroughES8_NS7_7AddReluELNS_25InMemoryDataOperationEnumE0ENS_16TensorDescriptorINS5_IJNS_5EmbedINS5_IJiiiiEEESD_Lb0EEENS_11PassThroughIiEENS_3PadIiiiLb0EEESI_SG_SG_NSC_INS5_IJiiEEESJ_Lb0EEESK_SG_NS_23Merge_v2_magic_divisionINS5_IJiiiEEEEESN_NS_8RightPadIiiLb0EEESP_NS_7UnMergeISJ_Lb0EEESG_EEENS5_IJNS_8SequenceIJLi0EEEENST_IJLi1EEEENST_IJLi2EEEENST_IJLi3EEEENST_IJLi4EEEENST_IJLi5EEEENST_IJLi6EEEENST_IJLi7EEEENST_IJLi8EEEENST_IJLi9ELi11ELi13EEEENST_IJLi10ELi12ELi14EEEENST_IJLi15EEEENST_IJLi16EEEENST_IJLi18EEEENST_IJLi17EEEEEEENS5_IJNST_IJLi1ELi2ELi3ELi4EEEESZ_S10_S11_S12_NST_IJLi9EEEENST_IJLi10ELi11EEEENST_IJLi12ELi13EEEENST_IJLi14EEEES15_S16_S18_S17_NST_IJLi19ELi20EEEENST_IJLi21EEEEEEENST_IJLi19ELi21ELi20EEEElEENSB_INS5_IJSR_SP_SP_SR_SG_EEENS5_IJSU_SV_SW_SY_SX_EEENS5_IJNST_IJLi1ELi2EEEESX_SY_NST_IJLi5ELi6EEEES11_EEENST_IJLi5ELi7ELi6EEEElEENSB_INS5_IJSK_SP_SP_EEENS5_IJSU_SV_SW_EEENS5_IJS1M_SX_SY_EEENST_IJLi3ELi4EEEElEELi128ELi128ELi16ELi1ELi4ELi4ELi1ENST_IJLi8ELi2EEEES1W_NST_IJLi8ELi1ELi1ELi1EEEENST_IJLi2ELi1ELi128ELi1EEEENST_IJLi1ELi2ELi0ELi3EEEES1Z_NST_IJLi4ELi1ELi1ELi1EEEES1Z_NST_IJLi1ELi1ELi1ELi1EEEES1X_S1Y_S1Z_S1Z_S20_S1Z_S21_NST_IJLi0ELi1ELi2ELi3ELi4ELi5EEEELi5ELi4EEEfNS5_IJPKfEEEfS8_S8_S9_NSB_INS5_IJSE_SG_SI_SI_SG_SG_SK_SK_SG_SN_SN_SP_SP_SR_SG_SG_NSQ_INS5_IJiNS_17integral_constantIiLi128EEEEEELb0EEENSF_INS27_IiLi1EEEEEEEENS5_IJSU_SV_SW_SX_SY_SZ_S10_S11_S12_S13_S14_S15_S16_S17_S18_NST_IJLi19EEEES1G_NST_IJLi20EEEEEEENS5_IJS1A_SZ_S10_S11_S12_S1B_S1C_S1D_S1E_S15_S16_S18_S17_S1F_S1G_NST_IJLi22EEEENST_IJLi23ELi24EEEENST_IJLi25EEEEEEENST_IJLi22ELi23ELi24ELi25EEEElEENSB_INS5_IJSR_SP_SP_SR_SG_SG_S2A_S2C_EEENS5_IJSU_SV_SW_SY_SX_SZ_S11_S10_EEENS5_IJS1M_SX_SY_S1N_S11_S12_NST_IJLi9ELi10EEEENST_IJLi11EEEEEEENST_IJLi8ELi9ELi10ELi11EEEElEENS5_IJNSB_INS5_IJSK_SP_SP_NSQ_INS5_IJiNS27_IiLi2EEENS27_IiLi64EEEEEELb0EEES2X_EEENS5_IJSU_SV_SW_SX_SY_EEENS5_IJS1M_SX_SY_NST_IJLi5ELi6ELi7EEEENST_IJLi8ELi9ELi10EEEEEEENST_IJLi5ELi6ELi7ELi8ELi9ELi10EEEElEEEEES34_NS_31BlockToCTileMap_M00_N00_M01_N01ILi128ELi128ES1V_Lb0EEENS1_30ComputePtrOffsetOfStridedBatchILi1ELi1ELi1EvEELb0ELb0EEEvPKT0_S3C_T1_PT2_T3_T4_T5_iT6_T7_T8_T9_T10_T11_,"axG",@progbits,_ZN2ck16tensor_operation6device12_GLOBAL__N_137kernel_grouped_conv_fwd_dl_multiple_dINS_32GridwiseGemmDlMultipleD_km_kn_mnILi256EffNS_5TupleIJfEEEfNS0_12element_wise11PassThroughES8_NS7_7AddReluELNS_25InMemoryDataOperationEnumE0ENS_16TensorDescriptorINS5_IJNS_5EmbedINS5_IJiiiiEEESD_Lb0EEENS_11PassThroughIiEENS_3PadIiiiLb0EEESI_SG_SG_NSC_INS5_IJiiEEESJ_Lb0EEESK_SG_NS_23Merge_v2_magic_divisionINS5_IJiiiEEEEESN_NS_8RightPadIiiLb0EEESP_NS_7UnMergeISJ_Lb0EEESG_EEENS5_IJNS_8SequenceIJLi0EEEENST_IJLi1EEEENST_IJLi2EEEENST_IJLi3EEEENST_IJLi4EEEENST_IJLi5EEEENST_IJLi6EEEENST_IJLi7EEEENST_IJLi8EEEENST_IJLi9ELi11ELi13EEEENST_IJLi10ELi12ELi14EEEENST_IJLi15EEEENST_IJLi16EEEENST_IJLi18EEEENST_IJLi17EEEEEEENS5_IJNST_IJLi1ELi2ELi3ELi4EEEESZ_S10_S11_S12_NST_IJLi9EEEENST_IJLi10ELi11EEEENST_IJLi12ELi13EEEENST_IJLi14EEEES15_S16_S18_S17_NST_IJLi19ELi20EEEENST_IJLi21EEEEEEENST_IJLi19ELi21ELi20EEEElEENSB_INS5_IJSR_SP_SP_SR_SG_EEENS5_IJSU_SV_SW_SY_SX_EEENS5_IJNST_IJLi1ELi2EEEESX_SY_NST_IJLi5ELi6EEEES11_EEENST_IJLi5ELi7ELi6EEEElEENSB_INS5_IJSK_SP_SP_EEENS5_IJSU_SV_SW_EEENS5_IJS1M_SX_SY_EEENST_IJLi3ELi4EEEElEELi128ELi128ELi16ELi1ELi4ELi4ELi1ENST_IJLi8ELi2EEEES1W_NST_IJLi8ELi1ELi1ELi1EEEENST_IJLi2ELi1ELi128ELi1EEEENST_IJLi1ELi2ELi0ELi3EEEES1Z_NST_IJLi4ELi1ELi1ELi1EEEES1Z_NST_IJLi1ELi1ELi1ELi1EEEES1X_S1Y_S1Z_S1Z_S20_S1Z_S21_NST_IJLi0ELi1ELi2ELi3ELi4ELi5EEEELi5ELi4EEEfNS5_IJPKfEEEfS8_S8_S9_NSB_INS5_IJSE_SG_SI_SI_SG_SG_SK_SK_SG_SN_SN_SP_SP_SR_SG_SG_NSQ_INS5_IJiNS_17integral_constantIiLi128EEEEEELb0EEENSF_INS27_IiLi1EEEEEEEENS5_IJSU_SV_SW_SX_SY_SZ_S10_S11_S12_S13_S14_S15_S16_S17_S18_NST_IJLi19EEEES1G_NST_IJLi20EEEEEEENS5_IJS1A_SZ_S10_S11_S12_S1B_S1C_S1D_S1E_S15_S16_S18_S17_S1F_S1G_NST_IJLi22EEEENST_IJLi23ELi24EEEENST_IJLi25EEEEEEENST_IJLi22ELi23ELi24ELi25EEEElEENSB_INS5_IJSR_SP_SP_SR_SG_SG_S2A_S2C_EEENS5_IJSU_SV_SW_SY_SX_SZ_S11_S10_EEENS5_IJS1M_SX_SY_S1N_S11_S12_NST_IJLi9ELi10EEEENST_IJLi11EEEEEEENST_IJLi8ELi9ELi10ELi11EEEElEENS5_IJNSB_INS5_IJSK_SP_SP_NSQ_INS5_IJiNS27_IiLi2EEENS27_IiLi64EEEEEELb0EEES2X_EEENS5_IJSU_SV_SW_SX_SY_EEENS5_IJS1M_SX_SY_NST_IJLi5ELi6ELi7EEEENST_IJLi8ELi9ELi10EEEEEEENST_IJLi5ELi6ELi7ELi8ELi9ELi10EEEElEEEEES34_NS_31BlockToCTileMap_M00_N00_M01_N01ILi128ELi128ES1V_Lb0EEENS1_30ComputePtrOffsetOfStridedBatchILi1ELi1ELi1EvEELb0ELb0EEEvPKT0_S3C_T1_PT2_T3_T4_T5_iT6_T7_T8_T9_T10_T11_,comdat
.Lfunc_end12:
	.size	_ZN2ck16tensor_operation6device12_GLOBAL__N_137kernel_grouped_conv_fwd_dl_multiple_dINS_32GridwiseGemmDlMultipleD_km_kn_mnILi256EffNS_5TupleIJfEEEfNS0_12element_wise11PassThroughES8_NS7_7AddReluELNS_25InMemoryDataOperationEnumE0ENS_16TensorDescriptorINS5_IJNS_5EmbedINS5_IJiiiiEEESD_Lb0EEENS_11PassThroughIiEENS_3PadIiiiLb0EEESI_SG_SG_NSC_INS5_IJiiEEESJ_Lb0EEESK_SG_NS_23Merge_v2_magic_divisionINS5_IJiiiEEEEESN_NS_8RightPadIiiLb0EEESP_NS_7UnMergeISJ_Lb0EEESG_EEENS5_IJNS_8SequenceIJLi0EEEENST_IJLi1EEEENST_IJLi2EEEENST_IJLi3EEEENST_IJLi4EEEENST_IJLi5EEEENST_IJLi6EEEENST_IJLi7EEEENST_IJLi8EEEENST_IJLi9ELi11ELi13EEEENST_IJLi10ELi12ELi14EEEENST_IJLi15EEEENST_IJLi16EEEENST_IJLi18EEEENST_IJLi17EEEEEEENS5_IJNST_IJLi1ELi2ELi3ELi4EEEESZ_S10_S11_S12_NST_IJLi9EEEENST_IJLi10ELi11EEEENST_IJLi12ELi13EEEENST_IJLi14EEEES15_S16_S18_S17_NST_IJLi19ELi20EEEENST_IJLi21EEEEEEENST_IJLi19ELi21ELi20EEEElEENSB_INS5_IJSR_SP_SP_SR_SG_EEENS5_IJSU_SV_SW_SY_SX_EEENS5_IJNST_IJLi1ELi2EEEESX_SY_NST_IJLi5ELi6EEEES11_EEENST_IJLi5ELi7ELi6EEEElEENSB_INS5_IJSK_SP_SP_EEENS5_IJSU_SV_SW_EEENS5_IJS1M_SX_SY_EEENST_IJLi3ELi4EEEElEELi128ELi128ELi16ELi1ELi4ELi4ELi1ENST_IJLi8ELi2EEEES1W_NST_IJLi8ELi1ELi1ELi1EEEENST_IJLi2ELi1ELi128ELi1EEEENST_IJLi1ELi2ELi0ELi3EEEES1Z_NST_IJLi4ELi1ELi1ELi1EEEES1Z_NST_IJLi1ELi1ELi1ELi1EEEES1X_S1Y_S1Z_S1Z_S20_S1Z_S21_NST_IJLi0ELi1ELi2ELi3ELi4ELi5EEEELi5ELi4EEEfNS5_IJPKfEEEfS8_S8_S9_NSB_INS5_IJSE_SG_SI_SI_SG_SG_SK_SK_SG_SN_SN_SP_SP_SR_SG_SG_NSQ_INS5_IJiNS_17integral_constantIiLi128EEEEEELb0EEENSF_INS27_IiLi1EEEEEEEENS5_IJSU_SV_SW_SX_SY_SZ_S10_S11_S12_S13_S14_S15_S16_S17_S18_NST_IJLi19EEEES1G_NST_IJLi20EEEEEEENS5_IJS1A_SZ_S10_S11_S12_S1B_S1C_S1D_S1E_S15_S16_S18_S17_S1F_S1G_NST_IJLi22EEEENST_IJLi23ELi24EEEENST_IJLi25EEEEEEENST_IJLi22ELi23ELi24ELi25EEEElEENSB_INS5_IJSR_SP_SP_SR_SG_SG_S2A_S2C_EEENS5_IJSU_SV_SW_SY_SX_SZ_S11_S10_EEENS5_IJS1M_SX_SY_S1N_S11_S12_NST_IJLi9ELi10EEEENST_IJLi11EEEEEEENST_IJLi8ELi9ELi10ELi11EEEElEENS5_IJNSB_INS5_IJSK_SP_SP_NSQ_INS5_IJiNS27_IiLi2EEENS27_IiLi64EEEEEELb0EEES2X_EEENS5_IJSU_SV_SW_SX_SY_EEENS5_IJS1M_SX_SY_NST_IJLi5ELi6ELi7EEEENST_IJLi8ELi9ELi10EEEEEEENST_IJLi5ELi6ELi7ELi8ELi9ELi10EEEElEEEEES34_NS_31BlockToCTileMap_M00_N00_M01_N01ILi128ELi128ES1V_Lb0EEENS1_30ComputePtrOffsetOfStridedBatchILi1ELi1ELi1EvEELb0ELb0EEEvPKT0_S3C_T1_PT2_T3_T4_T5_iT6_T7_T8_T9_T10_T11_, .Lfunc_end12-_ZN2ck16tensor_operation6device12_GLOBAL__N_137kernel_grouped_conv_fwd_dl_multiple_dINS_32GridwiseGemmDlMultipleD_km_kn_mnILi256EffNS_5TupleIJfEEEfNS0_12element_wise11PassThroughES8_NS7_7AddReluELNS_25InMemoryDataOperationEnumE0ENS_16TensorDescriptorINS5_IJNS_5EmbedINS5_IJiiiiEEESD_Lb0EEENS_11PassThroughIiEENS_3PadIiiiLb0EEESI_SG_SG_NSC_INS5_IJiiEEESJ_Lb0EEESK_SG_NS_23Merge_v2_magic_divisionINS5_IJiiiEEEEESN_NS_8RightPadIiiLb0EEESP_NS_7UnMergeISJ_Lb0EEESG_EEENS5_IJNS_8SequenceIJLi0EEEENST_IJLi1EEEENST_IJLi2EEEENST_IJLi3EEEENST_IJLi4EEEENST_IJLi5EEEENST_IJLi6EEEENST_IJLi7EEEENST_IJLi8EEEENST_IJLi9ELi11ELi13EEEENST_IJLi10ELi12ELi14EEEENST_IJLi15EEEENST_IJLi16EEEENST_IJLi18EEEENST_IJLi17EEEEEEENS5_IJNST_IJLi1ELi2ELi3ELi4EEEESZ_S10_S11_S12_NST_IJLi9EEEENST_IJLi10ELi11EEEENST_IJLi12ELi13EEEENST_IJLi14EEEES15_S16_S18_S17_NST_IJLi19ELi20EEEENST_IJLi21EEEEEEENST_IJLi19ELi21ELi20EEEElEENSB_INS5_IJSR_SP_SP_SR_SG_EEENS5_IJSU_SV_SW_SY_SX_EEENS5_IJNST_IJLi1ELi2EEEESX_SY_NST_IJLi5ELi6EEEES11_EEENST_IJLi5ELi7ELi6EEEElEENSB_INS5_IJSK_SP_SP_EEENS5_IJSU_SV_SW_EEENS5_IJS1M_SX_SY_EEENST_IJLi3ELi4EEEElEELi128ELi128ELi16ELi1ELi4ELi4ELi1ENST_IJLi8ELi2EEEES1W_NST_IJLi8ELi1ELi1ELi1EEEENST_IJLi2ELi1ELi128ELi1EEEENST_IJLi1ELi2ELi0ELi3EEEES1Z_NST_IJLi4ELi1ELi1ELi1EEEES1Z_NST_IJLi1ELi1ELi1ELi1EEEES1X_S1Y_S1Z_S1Z_S20_S1Z_S21_NST_IJLi0ELi1ELi2ELi3ELi4ELi5EEEELi5ELi4EEEfNS5_IJPKfEEEfS8_S8_S9_NSB_INS5_IJSE_SG_SI_SI_SG_SG_SK_SK_SG_SN_SN_SP_SP_SR_SG_SG_NSQ_INS5_IJiNS_17integral_constantIiLi128EEEEEELb0EEENSF_INS27_IiLi1EEEEEEEENS5_IJSU_SV_SW_SX_SY_SZ_S10_S11_S12_S13_S14_S15_S16_S17_S18_NST_IJLi19EEEES1G_NST_IJLi20EEEEEEENS5_IJS1A_SZ_S10_S11_S12_S1B_S1C_S1D_S1E_S15_S16_S18_S17_S1F_S1G_NST_IJLi22EEEENST_IJLi23ELi24EEEENST_IJLi25EEEEEEENST_IJLi22ELi23ELi24ELi25EEEElEENSB_INS5_IJSR_SP_SP_SR_SG_SG_S2A_S2C_EEENS5_IJSU_SV_SW_SY_SX_SZ_S11_S10_EEENS5_IJS1M_SX_SY_S1N_S11_S12_NST_IJLi9ELi10EEEENST_IJLi11EEEEEEENST_IJLi8ELi9ELi10ELi11EEEElEENS5_IJNSB_INS5_IJSK_SP_SP_NSQ_INS5_IJiNS27_IiLi2EEENS27_IiLi64EEEEEELb0EEES2X_EEENS5_IJSU_SV_SW_SX_SY_EEENS5_IJS1M_SX_SY_NST_IJLi5ELi6ELi7EEEENST_IJLi8ELi9ELi10EEEEEEENST_IJLi5ELi6ELi7ELi8ELi9ELi10EEEElEEEEES34_NS_31BlockToCTileMap_M00_N00_M01_N01ILi128ELi128ES1V_Lb0EEENS1_30ComputePtrOffsetOfStridedBatchILi1ELi1ELi1EvEELb0ELb0EEEvPKT0_S3C_T1_PT2_T3_T4_T5_iT6_T7_T8_T9_T10_T11_
                                        ; -- End function
	.section	.AMDGPU.csdata,"",@progbits
; Kernel info:
; codeLenInByte = 12940
; NumSgprs: 82
; NumVgprs: 105
; NumAgprs: 0
; TotalNumVgprs: 105
; ScratchSize: 0
; MemoryBound: 0
; FloatMode: 240
; IeeeMode: 1
; LDSByteSize: 32768 bytes/workgroup (compile time only)
; SGPRBlocks: 10
; VGPRBlocks: 13
; NumSGPRsForWavesPerEU: 82
; NumVGPRsForWavesPerEU: 105
; AccumOffset: 108
; Occupancy: 2
; WaveLimiterHint : 0
; COMPUTE_PGM_RSRC2:SCRATCH_EN: 0
; COMPUTE_PGM_RSRC2:USER_SGPR: 6
; COMPUTE_PGM_RSRC2:TRAP_HANDLER: 0
; COMPUTE_PGM_RSRC2:TGID_X_EN: 1
; COMPUTE_PGM_RSRC2:TGID_Y_EN: 0
; COMPUTE_PGM_RSRC2:TGID_Z_EN: 0
; COMPUTE_PGM_RSRC2:TIDIG_COMP_CNT: 0
; COMPUTE_PGM_RSRC3_GFX90A:ACCUM_OFFSET: 26
; COMPUTE_PGM_RSRC3_GFX90A:TG_SPLIT: 0
	.text
	.p2align	2                               ; -- Begin function _ZN2ck32GridwiseGemmDlMultipleD_km_kn_mnILi256EffNS_5TupleIJfEEEfNS_16tensor_operation12element_wise11PassThroughES5_NS4_7AddReluELNS_25InMemoryDataOperationEnumE0ENS_16TensorDescriptorINS1_IJNS_5EmbedINS1_IJiiiiiEEESA_Lb0EEENS_11PassThroughIiEENS_3PadIiiiLb0EEESF_SF_SD_SD_NS9_INS1_IJiiEEESG_Lb0EEESH_SH_SD_NS_23Merge_v2_magic_divisionINS1_IJiiiiEEEEESK_NS_8RightPadIiiLb0EEESM_NS_7UnMergeISG_Lb0EEESD_EEENS1_IJNS_8SequenceIJLi0EEEENSQ_IJLi1EEEENSQ_IJLi2EEEENSQ_IJLi3EEEENSQ_IJLi4EEEENSQ_IJLi5EEEENSQ_IJLi6EEEENSQ_IJLi7EEEENSQ_IJLi8EEEENSQ_IJLi9EEEENSQ_IJLi10EEEENSQ_IJLi11ELi13ELi15ELi17EEEENSQ_IJLi12ELi14ELi16ELi18EEEENSQ_IJLi19EEEENSQ_IJLi20EEEENSQ_IJLi22EEEENSQ_IJLi21EEEEEEENS1_IJNSQ_IJLi1ELi2ELi3ELi4ELi5EEEESX_SY_SZ_S10_S11_NSQ_IJLi11EEEENSQ_IJLi12ELi13EEEENSQ_IJLi14ELi15EEEENSQ_IJLi16ELi17EEEENSQ_IJLi18EEEES14_S15_S17_S16_NSQ_IJLi23ELi24EEEENSQ_IJLi25EEEEEEENSQ_IJLi23ELi25ELi24EEEElEENS8_INS1_IJSO_SM_SM_SO_SD_EEENS1_IJSR_SS_ST_SV_SU_EEENS1_IJNSQ_IJLi1ELi2EEEESU_SV_NSQ_IJLi5ELi6EEEESY_EEENSQ_IJLi5ELi7ELi6EEEElEENS8_INS1_IJSH_SM_SM_EEENS1_IJSR_SS_ST_EEENS1_IJS1M_SU_SV_EEENSQ_IJLi3ELi4EEEElEELi128ELi128ELi16ELi1ELi4ELi4ELi1ENSQ_IJLi8ELi2EEEES1W_NSQ_IJLi8ELi1ELi1ELi1EEEENSQ_IJLi2ELi1ELi128ELi1EEEENSQ_IJLi1ELi2ELi0ELi3EEEES1Z_NSQ_IJLi4ELi1ELi1ELi1EEEES1Z_NSQ_IJLi1ELi1ELi1ELi1EEEES1X_S1Y_S1Z_S1Z_S20_S1Z_S21_NSQ_IJLi0ELi1ELi2ELi3ELi4ELi5EEEELi5ELi4EE3RunINS1_IJNS8_INS1_IJSH_SM_SM_NSN_INS1_IJiNS_17integral_constantIiLi2EEENS25_IiLi64EEEEEELb0EEES29_EEENS1_IJSR_SS_ST_SU_SV_EEENS1_IJS1M_SU_SV_NSQ_IJLi5ELi6ELi7EEEENSQ_IJLi8ELi9ELi10EEEEEEENSQ_IJLi5ELi6ELi7ELi8ELi9ELi10EEEElEEEEELb1ELb1ENS_31BlockToCTileMap_M00_N00_M01_N01ILi128ELi128ES1V_Lb0EEEEEvPKfS2L_NS1_IJS2L_EEEPfPvRKS5_S2Q_RKS6_RKNS8_INS1_IJSB_SD_SF_SF_SF_SD_SD_SH_SH_SH_SD_SK_SK_SM_SM_SO_SD_SD_NSN_INS1_IJiNS25_IiLi128EEEEEELb0EEENSC_INS25_IiLi1EEEEEEEENS1_IJSR_SS_ST_SU_SV_SW_SX_SY_SZ_S10_S11_S12_S13_S14_S15_S16_S17_NSQ_IJLi23EEEES1G_NSQ_IJLi24EEEEEEENS1_IJS19_SX_SY_SZ_S10_S11_S1A_S1B_S1C_S1D_S1E_S14_S15_S17_S16_S1F_S1G_NSQ_IJLi26EEEENSQ_IJLi27ELi28EEEENSQ_IJLi29EEEEEEENSQ_IJLi26ELi27ELi28ELi29EEEElEERKNS8_INS1_IJSO_SM_SM_SO_SD_SD_S2V_S2X_EEENS1_IJSR_SS_ST_SV_SU_SW_SY_SX_EEENS1_IJS1M_SU_SV_S1N_SY_SZ_NSQ_IJLi9ELi10EEEES1A_EEENSQ_IJLi8ELi9ELi10ELi11EEEElEERKT_RKS2G_RKT2_NS25_IbXT0_EEENS25_IbXT1_EEE
	.type	_ZN2ck32GridwiseGemmDlMultipleD_km_kn_mnILi256EffNS_5TupleIJfEEEfNS_16tensor_operation12element_wise11PassThroughES5_NS4_7AddReluELNS_25InMemoryDataOperationEnumE0ENS_16TensorDescriptorINS1_IJNS_5EmbedINS1_IJiiiiiEEESA_Lb0EEENS_11PassThroughIiEENS_3PadIiiiLb0EEESF_SF_SD_SD_NS9_INS1_IJiiEEESG_Lb0EEESH_SH_SD_NS_23Merge_v2_magic_divisionINS1_IJiiiiEEEEESK_NS_8RightPadIiiLb0EEESM_NS_7UnMergeISG_Lb0EEESD_EEENS1_IJNS_8SequenceIJLi0EEEENSQ_IJLi1EEEENSQ_IJLi2EEEENSQ_IJLi3EEEENSQ_IJLi4EEEENSQ_IJLi5EEEENSQ_IJLi6EEEENSQ_IJLi7EEEENSQ_IJLi8EEEENSQ_IJLi9EEEENSQ_IJLi10EEEENSQ_IJLi11ELi13ELi15ELi17EEEENSQ_IJLi12ELi14ELi16ELi18EEEENSQ_IJLi19EEEENSQ_IJLi20EEEENSQ_IJLi22EEEENSQ_IJLi21EEEEEEENS1_IJNSQ_IJLi1ELi2ELi3ELi4ELi5EEEESX_SY_SZ_S10_S11_NSQ_IJLi11EEEENSQ_IJLi12ELi13EEEENSQ_IJLi14ELi15EEEENSQ_IJLi16ELi17EEEENSQ_IJLi18EEEES14_S15_S17_S16_NSQ_IJLi23ELi24EEEENSQ_IJLi25EEEEEEENSQ_IJLi23ELi25ELi24EEEElEENS8_INS1_IJSO_SM_SM_SO_SD_EEENS1_IJSR_SS_ST_SV_SU_EEENS1_IJNSQ_IJLi1ELi2EEEESU_SV_NSQ_IJLi5ELi6EEEESY_EEENSQ_IJLi5ELi7ELi6EEEElEENS8_INS1_IJSH_SM_SM_EEENS1_IJSR_SS_ST_EEENS1_IJS1M_SU_SV_EEENSQ_IJLi3ELi4EEEElEELi128ELi128ELi16ELi1ELi4ELi4ELi1ENSQ_IJLi8ELi2EEEES1W_NSQ_IJLi8ELi1ELi1ELi1EEEENSQ_IJLi2ELi1ELi128ELi1EEEENSQ_IJLi1ELi2ELi0ELi3EEEES1Z_NSQ_IJLi4ELi1ELi1ELi1EEEES1Z_NSQ_IJLi1ELi1ELi1ELi1EEEES1X_S1Y_S1Z_S1Z_S20_S1Z_S21_NSQ_IJLi0ELi1ELi2ELi3ELi4ELi5EEEELi5ELi4EE3RunINS1_IJNS8_INS1_IJSH_SM_SM_NSN_INS1_IJiNS_17integral_constantIiLi2EEENS25_IiLi64EEEEEELb0EEES29_EEENS1_IJSR_SS_ST_SU_SV_EEENS1_IJS1M_SU_SV_NSQ_IJLi5ELi6ELi7EEEENSQ_IJLi8ELi9ELi10EEEEEEENSQ_IJLi5ELi6ELi7ELi8ELi9ELi10EEEElEEEEELb1ELb1ENS_31BlockToCTileMap_M00_N00_M01_N01ILi128ELi128ES1V_Lb0EEEEEvPKfS2L_NS1_IJS2L_EEEPfPvRKS5_S2Q_RKS6_RKNS8_INS1_IJSB_SD_SF_SF_SF_SD_SD_SH_SH_SH_SD_SK_SK_SM_SM_SO_SD_SD_NSN_INS1_IJiNS25_IiLi128EEEEEELb0EEENSC_INS25_IiLi1EEEEEEEENS1_IJSR_SS_ST_SU_SV_SW_SX_SY_SZ_S10_S11_S12_S13_S14_S15_S16_S17_NSQ_IJLi23EEEES1G_NSQ_IJLi24EEEEEEENS1_IJS19_SX_SY_SZ_S10_S11_S1A_S1B_S1C_S1D_S1E_S14_S15_S17_S16_S1F_S1G_NSQ_IJLi26EEEENSQ_IJLi27ELi28EEEENSQ_IJLi29EEEEEEENSQ_IJLi26ELi27ELi28ELi29EEEElEERKNS8_INS1_IJSO_SM_SM_SO_SD_SD_S2V_S2X_EEENS1_IJSR_SS_ST_SV_SU_SW_SY_SX_EEENS1_IJS1M_SU_SV_S1N_SY_SZ_NSQ_IJLi9ELi10EEEES1A_EEENSQ_IJLi8ELi9ELi10ELi11EEEElEERKT_RKS2G_RKT2_NS25_IbXT0_EEENS25_IbXT1_EEE,@function
_ZN2ck32GridwiseGemmDlMultipleD_km_kn_mnILi256EffNS_5TupleIJfEEEfNS_16tensor_operation12element_wise11PassThroughES5_NS4_7AddReluELNS_25InMemoryDataOperationEnumE0ENS_16TensorDescriptorINS1_IJNS_5EmbedINS1_IJiiiiiEEESA_Lb0EEENS_11PassThroughIiEENS_3PadIiiiLb0EEESF_SF_SD_SD_NS9_INS1_IJiiEEESG_Lb0EEESH_SH_SD_NS_23Merge_v2_magic_divisionINS1_IJiiiiEEEEESK_NS_8RightPadIiiLb0EEESM_NS_7UnMergeISG_Lb0EEESD_EEENS1_IJNS_8SequenceIJLi0EEEENSQ_IJLi1EEEENSQ_IJLi2EEEENSQ_IJLi3EEEENSQ_IJLi4EEEENSQ_IJLi5EEEENSQ_IJLi6EEEENSQ_IJLi7EEEENSQ_IJLi8EEEENSQ_IJLi9EEEENSQ_IJLi10EEEENSQ_IJLi11ELi13ELi15ELi17EEEENSQ_IJLi12ELi14ELi16ELi18EEEENSQ_IJLi19EEEENSQ_IJLi20EEEENSQ_IJLi22EEEENSQ_IJLi21EEEEEEENS1_IJNSQ_IJLi1ELi2ELi3ELi4ELi5EEEESX_SY_SZ_S10_S11_NSQ_IJLi11EEEENSQ_IJLi12ELi13EEEENSQ_IJLi14ELi15EEEENSQ_IJLi16ELi17EEEENSQ_IJLi18EEEES14_S15_S17_S16_NSQ_IJLi23ELi24EEEENSQ_IJLi25EEEEEEENSQ_IJLi23ELi25ELi24EEEElEENS8_INS1_IJSO_SM_SM_SO_SD_EEENS1_IJSR_SS_ST_SV_SU_EEENS1_IJNSQ_IJLi1ELi2EEEESU_SV_NSQ_IJLi5ELi6EEEESY_EEENSQ_IJLi5ELi7ELi6EEEElEENS8_INS1_IJSH_SM_SM_EEENS1_IJSR_SS_ST_EEENS1_IJS1M_SU_SV_EEENSQ_IJLi3ELi4EEEElEELi128ELi128ELi16ELi1ELi4ELi4ELi1ENSQ_IJLi8ELi2EEEES1W_NSQ_IJLi8ELi1ELi1ELi1EEEENSQ_IJLi2ELi1ELi128ELi1EEEENSQ_IJLi1ELi2ELi0ELi3EEEES1Z_NSQ_IJLi4ELi1ELi1ELi1EEEES1Z_NSQ_IJLi1ELi1ELi1ELi1EEEES1X_S1Y_S1Z_S1Z_S20_S1Z_S21_NSQ_IJLi0ELi1ELi2ELi3ELi4ELi5EEEELi5ELi4EE3RunINS1_IJNS8_INS1_IJSH_SM_SM_NSN_INS1_IJiNS_17integral_constantIiLi2EEENS25_IiLi64EEEEEELb0EEES29_EEENS1_IJSR_SS_ST_SU_SV_EEENS1_IJS1M_SU_SV_NSQ_IJLi5ELi6ELi7EEEENSQ_IJLi8ELi9ELi10EEEEEEENSQ_IJLi5ELi6ELi7ELi8ELi9ELi10EEEElEEEEELb1ELb1ENS_31BlockToCTileMap_M00_N00_M01_N01ILi128ELi128ES1V_Lb0EEEEEvPKfS2L_NS1_IJS2L_EEEPfPvRKS5_S2Q_RKS6_RKNS8_INS1_IJSB_SD_SF_SF_SF_SD_SD_SH_SH_SH_SD_SK_SK_SM_SM_SO_SD_SD_NSN_INS1_IJiNS25_IiLi128EEEEEELb0EEENSC_INS25_IiLi1EEEEEEEENS1_IJSR_SS_ST_SU_SV_SW_SX_SY_SZ_S10_S11_S12_S13_S14_S15_S16_S17_NSQ_IJLi23EEEES1G_NSQ_IJLi24EEEEEEENS1_IJS19_SX_SY_SZ_S10_S11_S1A_S1B_S1C_S1D_S1E_S14_S15_S17_S16_S1F_S1G_NSQ_IJLi26EEEENSQ_IJLi27ELi28EEEENSQ_IJLi29EEEEEEENSQ_IJLi26ELi27ELi28ELi29EEEElEERKNS8_INS1_IJSO_SM_SM_SO_SD_SD_S2V_S2X_EEENS1_IJSR_SS_ST_SV_SU_SW_SY_SX_EEENS1_IJS1M_SU_SV_S1N_SY_SZ_NSQ_IJLi9ELi10EEEES1A_EEENSQ_IJLi8ELi9ELi10ELi11EEEElEERKT_RKS2G_RKT2_NS25_IbXT0_EEENS25_IbXT1_EEE: ; @_ZN2ck32GridwiseGemmDlMultipleD_km_kn_mnILi256EffNS_5TupleIJfEEEfNS_16tensor_operation12element_wise11PassThroughES5_NS4_7AddReluELNS_25InMemoryDataOperationEnumE0ENS_16TensorDescriptorINS1_IJNS_5EmbedINS1_IJiiiiiEEESA_Lb0EEENS_11PassThroughIiEENS_3PadIiiiLb0EEESF_SF_SD_SD_NS9_INS1_IJiiEEESG_Lb0EEESH_SH_SD_NS_23Merge_v2_magic_divisionINS1_IJiiiiEEEEESK_NS_8RightPadIiiLb0EEESM_NS_7UnMergeISG_Lb0EEESD_EEENS1_IJNS_8SequenceIJLi0EEEENSQ_IJLi1EEEENSQ_IJLi2EEEENSQ_IJLi3EEEENSQ_IJLi4EEEENSQ_IJLi5EEEENSQ_IJLi6EEEENSQ_IJLi7EEEENSQ_IJLi8EEEENSQ_IJLi9EEEENSQ_IJLi10EEEENSQ_IJLi11ELi13ELi15ELi17EEEENSQ_IJLi12ELi14ELi16ELi18EEEENSQ_IJLi19EEEENSQ_IJLi20EEEENSQ_IJLi22EEEENSQ_IJLi21EEEEEEENS1_IJNSQ_IJLi1ELi2ELi3ELi4ELi5EEEESX_SY_SZ_S10_S11_NSQ_IJLi11EEEENSQ_IJLi12ELi13EEEENSQ_IJLi14ELi15EEEENSQ_IJLi16ELi17EEEENSQ_IJLi18EEEES14_S15_S17_S16_NSQ_IJLi23ELi24EEEENSQ_IJLi25EEEEEEENSQ_IJLi23ELi25ELi24EEEElEENS8_INS1_IJSO_SM_SM_SO_SD_EEENS1_IJSR_SS_ST_SV_SU_EEENS1_IJNSQ_IJLi1ELi2EEEESU_SV_NSQ_IJLi5ELi6EEEESY_EEENSQ_IJLi5ELi7ELi6EEEElEENS8_INS1_IJSH_SM_SM_EEENS1_IJSR_SS_ST_EEENS1_IJS1M_SU_SV_EEENSQ_IJLi3ELi4EEEElEELi128ELi128ELi16ELi1ELi4ELi4ELi1ENSQ_IJLi8ELi2EEEES1W_NSQ_IJLi8ELi1ELi1ELi1EEEENSQ_IJLi2ELi1ELi128ELi1EEEENSQ_IJLi1ELi2ELi0ELi3EEEES1Z_NSQ_IJLi4ELi1ELi1ELi1EEEES1Z_NSQ_IJLi1ELi1ELi1ELi1EEEES1X_S1Y_S1Z_S1Z_S20_S1Z_S21_NSQ_IJLi0ELi1ELi2ELi3ELi4ELi5EEEELi5ELi4EE3RunINS1_IJNS8_INS1_IJSH_SM_SM_NSN_INS1_IJiNS_17integral_constantIiLi2EEENS25_IiLi64EEEEEELb0EEES29_EEENS1_IJSR_SS_ST_SU_SV_EEENS1_IJS1M_SU_SV_NSQ_IJLi5ELi6ELi7EEEENSQ_IJLi8ELi9ELi10EEEEEEENSQ_IJLi5ELi6ELi7ELi8ELi9ELi10EEEElEEEEELb1ELb1ENS_31BlockToCTileMap_M00_N00_M01_N01ILi128ELi128ES1V_Lb0EEEEEvPKfS2L_NS1_IJS2L_EEEPfPvRKS5_S2Q_RKS6_RKNS8_INS1_IJSB_SD_SF_SF_SF_SD_SD_SH_SH_SH_SD_SK_SK_SM_SM_SO_SD_SD_NSN_INS1_IJiNS25_IiLi128EEEEEELb0EEENSC_INS25_IiLi1EEEEEEEENS1_IJSR_SS_ST_SU_SV_SW_SX_SY_SZ_S10_S11_S12_S13_S14_S15_S16_S17_NSQ_IJLi23EEEES1G_NSQ_IJLi24EEEEEEENS1_IJS19_SX_SY_SZ_S10_S11_S1A_S1B_S1C_S1D_S1E_S14_S15_S17_S16_S1F_S1G_NSQ_IJLi26EEEENSQ_IJLi27ELi28EEEENSQ_IJLi29EEEEEEENSQ_IJLi26ELi27ELi28ELi29EEEElEERKNS8_INS1_IJSO_SM_SM_SO_SD_SD_S2V_S2X_EEENS1_IJSR_SS_ST_SV_SU_SW_SY_SX_EEENS1_IJS1M_SU_SV_S1N_SY_SZ_NSQ_IJLi9ELi10EEEES1A_EEENSQ_IJLi8ELi9ELi10ELi11EEEElEERKT_RKS2G_RKT2_NS25_IbXT0_EEENS25_IbXT1_EEE
; %bb.0:
	s_waitcnt vmcnt(0) expcnt(0) lgkmcnt(0)
	v_accvgpr_write_b32 a4, v12
	v_accvgpr_write_b32 a5, v13
	v_mov_b32_e32 v23, v1
	v_mov_b32_e32 v22, v0
	flat_load_dwordx4 v[24:27], v[16:17] offset:68
	flat_load_dword v12, v[8:9] offset:276
	flat_load_dwordx3 v[96:98], v[8:9] offset:212
	flat_load_dwordx4 v[32:35], v[16:17] offset:88
	flat_load_dwordx4 v[36:39], v[16:17] offset:48
	flat_load_dwordx3 v[52:54], v[8:9] offset:228
	flat_load_dwordx3 v[64:66], v[8:9] offset:196
	flat_load_dword v117, v[16:17] offset:20
	flat_load_dwordx3 v[80:82], v[8:9] offset:160
	flat_load_dwordx3 v[68:70], v[8:9] offset:176
	flat_load_dword v116, v[16:17] offset:36
	flat_load_dwordx2 v[0:1], v[8:9] offset:128
	flat_load_dwordx3 v[84:86], v[8:9] offset:144
	v_mov_b32_e32 v21, v5
	v_mov_b32_e32 v20, v4
	v_and_b32_e32 v13, 0x3ff, v31
	flat_load_dwordx4 v[28:31], v[8:9] offset:60
	flat_load_dwordx4 v[16:19], v[8:9] offset:44
	flat_load_dword v55, v[8:9] offset:36
	flat_load_dwordx4 v[48:51], v[8:9] offset:20
	flat_load_dword v99, v[8:9] offset:312
	flat_load_dword v87, v[8:9] offset:260
	;; [unrolled: 1-line block ×3, first 2 shown]
	flat_load_dwordx2 v[4:5], v[8:9] offset:112
	flat_load_dwordx2 v[100:101], v[8:9] offset:96
	flat_load_dword v103, v[8:9] offset:76
	flat_load_dword v83, v[10:11] offset:88
	;; [unrolled: 1-line block ×4, first 2 shown]
	flat_load_dwordx2 a[2:3], v[14:15] offset:72
	v_lshlrev_b32_e32 v113, 3, v13
	v_and_b32_e32 v107, 8, v113
	v_lshrrev_b32_e32 v67, 1, v13
	v_accvgpr_write_b32 a0, v14
	v_accvgpr_write_b32 a1, v15
	s_mov_b32 s26, 0
	s_mov_b64 s[10:11], exec
	s_waitcnt vmcnt(0) lgkmcnt(0)
	v_mul_hi_u32 v27, v27, s12
	v_mul_lo_u32 v113, v12, v107
	v_add_u32_e32 v27, s12, v27
	v_lshl_add_u32 v12, v12, 2, v113
	v_lshrrev_b32_e32 v27, v35, v27
	v_mul_hi_u32 v114, v113, v98
	v_mul_hi_u32 v98, v98, v12
	;; [unrolled: 1-line block ×3, first 2 shown]
	v_add_u32_e32 v35, v113, v114
	v_add_u32_e32 v98, v12, v98
	;; [unrolled: 1-line block ×3, first 2 shown]
	v_lshrrev_b32_e32 v35, v54, v35
	v_lshrrev_b32_e32 v98, v54, v98
	;; [unrolled: 1-line block ×3, first 2 shown]
	v_mul_hi_u32 v25, v54, v25
	v_add_u32_e32 v25, v54, v25
	v_lshrrev_b32_e32 v25, v33, v25
	v_mul_lo_u32 v39, v27, v39
	v_mul_hi_u32 v115, v35, v97
	v_mul_hi_u32 v24, v25, v24
	v_sub_u32_e32 v26, s12, v39
	v_mul_lo_u32 v39, v35, v66
	v_add_u32_e32 v34, v35, v115
	v_add_u32_e32 v24, v25, v24
	v_sub_u32_e32 v114, v113, v39
	v_mul_lo_u32 v38, v54, v38
	v_lshrrev_b32_e32 v39, v53, v34
	v_lshrrev_b32_e32 v24, v32, v24
	v_sub_u32_e32 v34, v27, v38
	v_mul_lo_u32 v38, v39, v65
	v_mul_lo_u32 v24, v24, v36
	v_mul_hi_u32 v97, v98, v97
	v_sub_u32_e32 v35, v35, v38
	v_sub_u32_e32 v24, v25, v24
	v_add_u32_e32 v97, v98, v97
	v_mul_lo_u32 v37, v25, v37
	v_mad_u64_u32 v[24:25], s[4:5], v24, v117, v[34:35]
	v_lshrrev_b32_e32 v53, v53, v97
	v_readfirstlane_b32 s24, v24
	v_mul_hi_u32 v27, v39, v96
	v_mul_hi_u32 v33, v53, v96
	v_lshl_or_b32 v96, s24, 7, v67
	v_mul_hi_u32 v15, v82, v96
	v_add_u32_e32 v15, v96, v15
	v_lshrrev_b32_e32 v25, v70, v15
	v_mul_hi_u32 v15, v25, v81
	v_add_u32_e32 v15, v25, v15
	v_lshrrev_b32_e32 v32, v69, v15
	v_mul_hi_u32 v15, v32, v80
	v_add_u32_e32 v27, v39, v27
	v_sub_u32_e32 v37, v54, v37
	v_add_u32_e32 v15, v32, v15
	v_mul_lo_u32 v38, v53, v65
	v_lshrrev_b32_e32 v34, v68, v15
	v_mad_u64_u32 v[14:15], s[4:5], v37, v116, v[26:27]
	v_sub_u32_e32 v106, v98, v38
	v_lshrrev_b32_e32 v15, v52, v27
	v_mul_lo_u32 v24, v0, v35
	v_sub_u32_e32 v27, v106, v35
	v_mul_lo_u32 v35, v15, v64
	v_readfirstlane_b32 s25, v14
	v_mul_lo_u32 v14, v25, v86
	v_mul_lo_u32 v26, v32, v85
	v_sub_u32_e32 v65, v39, v35
	v_mul_lo_u32 v54, v0, v27
	v_sub_u32_e32 v0, v96, v14
	v_sub_u32_e32 v25, v25, v26
	v_mul_lo_u32 v14, v4, v65
	v_mad_u64_u32 v[0:1], s[4:5], v1, v0, v[24:25]
	v_mad_u64_u32 v[36:37], s[4:5], v25, v5, v[14:15]
	v_sub_u32_e32 v1, v36, v28
	v_sub_u32_e32 v5, v0, v31
	v_mul_lo_u32 v68, v34, v84
	v_mul_lo_u32 v1, v1, v50
	;; [unrolled: 1-line block ×4, first 2 shown]
	v_add3_u32 v1, v14, v5, v1
	v_sub_u32_e32 v5, v32, v68
	v_mul_lo_u32 v14, v100, v15
	v_mad_u64_u32 v[38:39], s[4:5], v5, v101, v[14:15]
	v_sub_u32_e32 v14, v38, v17
	v_mul_lo_u32 v5, v34, v48
	v_mul_lo_u32 v14, v14, v49
	v_sub_u32_e32 v37, v30, v103
	v_add3_u32 v5, v1, v5, v14
	v_lshrrev_b32_e32 v1, 5, v13
	v_lshlrev_b32_e32 v24, 1, v13
	v_cmp_ge_i32_e64 s[6:7], v0, v31
	v_cmp_gt_i32_e64 s[8:9], v37, v0
	v_lshlrev_b32_e32 v14, 6, v1
	v_and_b32_e32 v25, 0x1f8, v24
	v_cmp_lt_i32_e64 s[4:5], v113, v87
	s_and_b64 s[6:7], s[6:7], s[8:9]
	v_sub_u32_e32 v19, v19, v29
	v_sub_u32_e32 v14, v25, v14
	v_lshlrev_b32_e32 v13, 2, v13
	s_and_b64 s[8:9], s[4:5], s[6:7]
	v_cmp_ge_i32_e64 s[4:5], v36, v28
	v_cmp_gt_i32_e64 s[6:7], v19, v36
	v_and_or_b32 v109, v13, 4, v14
	v_and_b32_e32 v13, 0x1fc, v24
	s_and_b64 s[4:5], s[4:5], s[6:7]
	v_sub_u32_e32 v16, v16, v18
	v_sub_u32_e32 v13, v13, v25
	s_and_b64 s[8:9], s[8:9], s[4:5]
	v_cmp_ge_i32_e64 s[4:5], v38, v17
	v_cmp_gt_i32_e64 s[6:7], v16, v38
	v_lshl_add_u32 v108, v1, 3, v13
	v_mul_lo_u32 v1, v98, v66
	s_and_b64 s[4:5], s[4:5], s[6:7]
	v_cmp_lt_i32_e32 vcc, v96, v102
	v_sub_u32_e32 v39, v12, v1
	s_and_b64 s[4:5], s[8:9], s[4:5]
	v_lshl_or_b32 v13, s25, 7, v67
	v_mul_lo_u32 v30, v71, v107
	v_accvgpr_write_b32 a11, v96
	v_lshlrev_b32_e32 v24, 2, v99
	v_mov_b32_e32 v25, 0x20000
	v_sub_u32_e32 v48, v39, v114
	v_add_u32_e32 v1, v53, v33
	s_and_b64 s[4:5], vcc, s[4:5]
	v_accvgpr_write_b32 a10, v13
	v_mad_u64_u32 v[26:27], s[6:7], v112, v13, v[30:31]
	v_lshlrev_b32_e32 v13, 2, v5
.LBB13_1:                               ; =>This Inner Loop Header: Depth=1
	v_readfirstlane_b32 s12, v22
	v_readfirstlane_b32 s13, v23
	;; [unrolled: 1-line block ×4, first 2 shown]
	v_cmp_eq_u64_e64 s[6:7], s[12:13], v[22:23]
	v_cmp_eq_u64_e64 s[8:9], s[14:15], v[24:25]
	s_and_b64 s[6:7], s[6:7], s[8:9]
	s_and_saveexec_b64 s[6:7], s[6:7]
	s_nop 0
	buffer_load_dwordx4 v[32:35], v13, s[12:15], 0 offen
                                        ; implicit-def: $vgpr13
	s_xor_b64 exec, exec, s[6:7]
	s_cbranch_execnz .LBB13_1
; %bb.2:
	s_mov_b64 exec, s[10:11]
	v_lshrrev_b32_e32 v14, v52, v1
	v_mul_lo_u32 v1, v14, v64
	v_sub_u32_e32 v13, v53, v1
	v_sub_u32_e32 v1, v14, v15
	;; [unrolled: 1-line block ×3, first 2 shown]
	v_add_u32_e32 v15, v0, v54
	v_mul_lo_u32 v4, v4, v18
	v_cmp_le_i32_e64 s[6:7], v31, v15
	v_cmp_gt_i32_e64 s[8:9], v37, v15
	s_waitcnt vmcnt(0)
	v_cndmask_b32_e64 v27, 0, v35, s[4:5]
	v_cndmask_b32_e64 v29, 0, v34, s[4:5]
	;; [unrolled: 1-line block ×4, first 2 shown]
	v_mul_lo_u32 v18, v100, v1
	v_add_u32_e32 v1, v36, v4
	v_cmp_lt_i32_e64 s[4:5], v12, v87
	s_and_b64 s[6:7], s[6:7], s[8:9]
	s_and_b64 s[8:9], s[4:5], s[6:7]
	v_cmp_le_i32_e64 s[4:5], v28, v1
	v_cmp_gt_i32_e64 s[6:7], v19, v1
	v_add_u32_e32 v0, v38, v18
	s_and_b64 s[4:5], s[4:5], s[6:7]
	v_mul_lo_u32 v18, v18, v49
	v_mul_lo_u32 v4, v4, v50
	;; [unrolled: 1-line block ×3, first 2 shown]
	s_and_b64 s[8:9], s[8:9], s[4:5]
	v_cmp_le_i32_e64 s[4:5], v17, v0
	v_cmp_gt_i32_e64 s[6:7], v16, v0
	v_mul_lo_u32 v35, v55, v48
	v_add3_u32 v4, v4, v34, v18
	s_and_b64 s[4:5], s[4:5], s[6:7]
	v_add3_u32 v55, v4, v35, v5
	s_and_b64 s[4:5], s[8:9], s[4:5]
	v_lshlrev_b32_e32 v4, 2, v55
	s_and_b64 vcc, vcc, s[4:5]
	s_mov_b64 s[12:13], exec
.LBB13_3:                               ; =>This Inner Loop Header: Depth=1
	v_readfirstlane_b32 s8, v22
	v_readfirstlane_b32 s9, v23
	;; [unrolled: 1-line block ×4, first 2 shown]
	v_cmp_eq_u64_e64 s[4:5], s[8:9], v[22:23]
	v_cmp_eq_u64_e64 s[6:7], s[10:11], v[24:25]
	s_and_b64 s[4:5], s[4:5], s[6:7]
	s_and_saveexec_b64 s[4:5], s[4:5]
	s_nop 0
	buffer_load_dwordx4 v[16:19], v4, s[8:11], 0 offen
                                        ; implicit-def: $vgpr4
	s_xor_b64 exec, exec, s[4:5]
	s_cbranch_execnz .LBB13_3
; %bb.4:
	s_mov_b64 exec, s[12:13]
	flat_load_dword v49, v[10:11] offset:32
	flat_load_dword v37, v[10:11] offset:20
	s_waitcnt vmcnt(0)
	v_cndmask_b32_e32 v35, 0, v16, vcc
	v_accvgpr_read_b32 v16, a10
	v_cndmask_b32_e32 v28, 0, v19, vcc
	v_cndmask_b32_e32 v31, 0, v18, vcc
	;; [unrolled: 1-line block ×3, first 2 shown]
	v_lshlrev_b32_e32 v4, 2, v83
	v_mov_b32_e32 v5, 0x20000
	v_lshlrev_b32_e32 v36, 2, v26
	s_mov_b64 s[10:11], exec
	s_waitcnt lgkmcnt(0)
	v_cmp_gt_i32_e64 s[4:5], v49, v30
	v_cmp_gt_i32_e32 vcc, v37, v16
	s_and_b64 s[4:5], vcc, s[4:5]
.LBB13_5:                               ; =>This Inner Loop Header: Depth=1
	v_readfirstlane_b32 s12, v2
	v_readfirstlane_b32 s13, v3
	;; [unrolled: 1-line block ×4, first 2 shown]
	v_cmp_eq_u64_e64 s[6:7], s[12:13], v[2:3]
	v_cmp_eq_u64_e64 s[8:9], s[14:15], v[4:5]
	s_and_b64 s[6:7], s[6:7], s[8:9]
	s_and_saveexec_b64 s[6:7], s[6:7]
	s_nop 0
	buffer_load_dwordx4 v[16:19], v36, s[12:15], 0 offen
                                        ; implicit-def: $vgpr36
	s_xor_b64 exec, exec, s[6:7]
	s_cbranch_execnz .LBB13_5
; %bb.6:
	s_mov_b64 exec, s[10:11]
	s_waitcnt vmcnt(0)
	v_cndmask_b32_e64 v48, 0, v16, s[4:5]
	v_lshlrev_b32_e32 v16, 2, v71
	v_add_u32_e32 v116, v16, v30
	v_cndmask_b32_e64 v36, 0, v19, s[4:5]
	v_cndmask_b32_e64 v37, 0, v18, s[4:5]
	;; [unrolled: 1-line block ×3, first 2 shown]
	v_add_u32_e32 v117, v26, v16
	v_cmp_gt_i32_e64 s[4:5], v49, v116
	v_lshlrev_b32_e32 v26, 2, v117
	s_and_b64 vcc, vcc, s[4:5]
	s_mov_b64 s[12:13], exec
.LBB13_7:                               ; =>This Inner Loop Header: Depth=1
	v_readfirstlane_b32 s8, v2
	v_readfirstlane_b32 s9, v3
	v_readfirstlane_b32 s10, v4
	v_readfirstlane_b32 s11, v5
	v_cmp_eq_u64_e64 s[4:5], s[8:9], v[2:3]
	v_cmp_eq_u64_e64 s[6:7], s[10:11], v[4:5]
	s_and_b64 s[4:5], s[4:5], s[6:7]
	s_and_saveexec_b64 s[4:5], s[4:5]
	s_nop 0
	buffer_load_dwordx4 v[16:19], v26, s[8:11], 0 offen
                                        ; implicit-def: $vgpr26
	s_xor_b64 exec, exec, s[4:5]
	s_cbranch_execnz .LBB13_7
; %bb.8:
	s_mov_b64 exec, s[12:13]
	flat_load_dword v26, v[8:9] offset:288
	v_lshlrev_b32_e32 v30, 2, v67
	s_waitcnt vmcnt(0)
	v_cndmask_b32_e32 v16, 0, v16, vcc
	v_lshl_or_b32 v30, v107, 9, v30
	v_cndmask_b32_e32 v19, 0, v19, vcc
	v_cndmask_b32_e32 v18, 0, v18, vcc
	;; [unrolled: 1-line block ×3, first 2 shown]
	ds_write2st64_b32 v30, v32, v33 offset1:2
	ds_write2st64_b32 v30, v29, v27 offset0:4 offset1:6
	ds_write2st64_b32 v30, v35, v34 offset0:8 offset1:10
	;; [unrolled: 1-line block ×7, first 2 shown]
	s_mov_b64 s[16:17], 0
	v_mov_b32_e32 v60, 0
	v_mov_b32_e32 v61, 0
	;; [unrolled: 1-line block ×64, first 2 shown]
	v_accvgpr_write_b32 a6, v108
	v_lshlrev_b32_e32 v108, 2, v108
	v_accvgpr_write_b32 a3, v109
	v_lshlrev_b32_e32 v109, 2, v109
	v_accvgpr_write_b32 a7, v30
	v_mov_b32_e32 v107, v12
	s_waitcnt lgkmcnt(0)
	v_subrev_u32_e32 v16, 32, v26
	v_accvgpr_write_b32 a12, v16
	v_or_b32_e32 v16, 0x4000, v30
	v_accvgpr_write_b32 a13, v16
	v_or_b32_e32 v16, 0x2000, v30
	;; [unrolled: 2-line block ×3, first 2 shown]
	v_accvgpr_write_b32 a8, v16
.LBB13_9:                               ; =>This Loop Header: Depth=1
                                        ;     Child Loop BB13_10 Depth 2
                                        ;     Child Loop BB13_12 Depth 2
	;; [unrolled: 1-line block ×8, first 2 shown]
	flat_load_dword v34, v[8:9] offset:276
	flat_load_dwordx4 v[30:33], v[8:9] offset:24
	flat_load_dword v111, v[10:11] offset:48
	flat_load_dword v35, v[8:9] offset:248
	flat_load_dwordx4 v[16:19], v[8:9] offset:60
	flat_load_dword v51, v[8:9] offset:76
	flat_load_dwordx4 v[26:29], v[8:9] offset:44
	flat_load_dword v121, v[10:11] offset:20
	flat_load_dwordx3 v[122:124], v[8:9] offset:212
	flat_load_dword v126, v[8:9] offset:260
	flat_load_dword v120, v[10:11] offset:32
	flat_load_dwordx3 v[48:50], v[8:9] offset:228
	flat_load_dwordx3 v[36:38], v[8:9] offset:196
	flat_load_dword v127, v[8:9] offset:128
	flat_load_dword v110, v[8:9] offset:112
	s_mov_b64 s[22:23], exec
	s_waitcnt vmcnt(0) lgkmcnt(0)
	v_mul_lo_u32 v125, v34, 12
	v_mov_b32_e32 v54, v33
	v_mov_b32_e32 v53, v32
	;; [unrolled: 1-line block ×3, first 2 shown]
	v_add_u32_e32 v12, v125, v12
	v_sub_u32_e32 v33, v18, v51
	v_sub_u32_e32 v18, v26, v28
	v_lshlrev_b32_e32 v26, 2, v34
	v_accvgpr_read_b32 v28, a10
	v_sub_u32_e32 v17, v29, v17
	v_cmp_gt_i32_e64 s[4:5], v121, v28
	v_add_u32_e32 v28, v125, v107
	v_mul_hi_u32 v29, v12, v124
	v_add_u32_e32 v125, v26, v12
	v_cmp_lt_i32_e64 s[8:9], v28, v126
	v_add_u32_e32 v51, v26, v28
	v_add_u32_e32 v26, v12, v29
	v_mul_hi_u32 v28, v125, v124
	v_mul_lo_u32 v32, v111, 12
	v_accvgpr_read_b32 v31, a11
	v_lshrrev_b32_e32 v26, v50, v26
	v_add_u32_e32 v28, v125, v28
	v_cmp_lt_i32_e32 vcc, v31, v35
	v_add_u32_e32 v31, v32, v116
	v_add_u32_e32 v117, v32, v117
	v_mul_lo_u32 v29, v26, v38
	v_mul_hi_u32 v32, v26, v123
	v_lshrrev_b32_e32 v34, v50, v28
	v_sub_u32_e32 v12, v12, v29
	v_add_u32_e32 v28, v26, v32
	v_mul_lo_u32 v29, v34, v38
	v_mul_hi_u32 v32, v34, v123
	v_sub_u32_e32 v35, v12, v39
	v_lshrrev_b32_e32 v28, v49, v28
	v_sub_u32_e32 v39, v125, v29
	v_add_u32_e32 v29, v34, v32
	v_mul_lo_u32 v32, v28, v37
	v_sub_u32_e32 v50, v39, v12
	v_lshrrev_b32_e32 v12, v49, v29
	v_sub_u32_e32 v32, v26, v32
	v_mul_lo_u32 v37, v12, v37
	v_cmp_lt_i32_e64 s[10:11], v51, v126
	v_mul_hi_u32 v38, v28, v122
	v_sub_u32_e32 v49, v32, v106
	v_sub_u32_e32 v126, v34, v37
	v_add_u32_e32 v29, v28, v38
	v_mul_hi_u32 v38, v12, v122
	v_mul_lo_u32 v34, v49, v127
	v_sub_u32_e32 v32, v126, v32
	v_add_u32_e32 v37, v12, v38
	v_add_u32_e32 v38, v34, v15
	v_mul_lo_u32 v32, v32, v127
	v_cmp_le_i32_e64 s[12:13], v19, v38
	v_cmp_gt_i32_e64 s[14:15], v33, v38
	v_add_u32_e32 v127, v32, v38
	s_and_b64 s[18:19], s[12:13], s[14:15]
	v_cmp_le_i32_e64 s[12:13], v19, v127
	v_cmp_gt_i32_e64 s[14:15], v33, v127
	v_cmp_gt_i32_e64 s[6:7], v120, v31
	v_mul_lo_u32 v35, v54, v35
	v_mul_lo_u32 v15, v34, v53
	s_and_b64 s[20:21], s[8:9], s[18:19]
	s_and_b64 s[8:9], s[12:13], s[14:15]
	v_lshlrev_b32_e32 v107, 2, v117
	s_and_b64 s[6:7], s[4:5], s[6:7]
	v_mul_lo_u32 v26, v54, v50
	v_add3_u32 v15, v35, v55, v15
	v_mul_lo_u32 v116, v32, v53
	s_and_b64 s[18:19], s[10:11], s[8:9]
.LBB13_10:                              ;   Parent Loop BB13_9 Depth=1
                                        ; =>  This Inner Loop Header: Depth=2
	v_readfirstlane_b32 s12, v2
	v_readfirstlane_b32 s13, v3
	;; [unrolled: 1-line block ×4, first 2 shown]
	v_cmp_eq_u64_e64 s[8:9], s[12:13], v[2:3]
	v_cmp_eq_u64_e64 s[10:11], s[14:15], v[4:5]
	s_and_b64 s[8:9], s[8:9], s[10:11]
	s_and_saveexec_b64 s[8:9], s[8:9]
	s_nop 0
	buffer_load_dwordx4 v[32:35], v107, s[12:15], 0 offen
                                        ; implicit-def: $vgpr107
	s_xor_b64 exec, exec, s[8:9]
	s_cbranch_execnz .LBB13_10
; %bb.11:                               ;   in Loop: Header=BB13_9 Depth=1
	s_mov_b64 exec, s[22:23]
	s_waitcnt vmcnt(0)
	v_cndmask_b32_e64 v19, 0, v35, s[6:7]
	v_accvgpr_write_b32 a14, v19
	v_lshlrev_b32_e32 v19, 2, v111
	v_add_u32_e32 v55, v19, v31
	v_cndmask_b32_e64 v49, 0, v34, s[6:7]
	v_cndmask_b32_e64 v50, 0, v33, s[6:7]
	;; [unrolled: 1-line block ×3, first 2 shown]
	v_add_u32_e32 v117, v19, v117
	v_cmp_gt_i32_e64 s[6:7], v120, v55
	v_lshlrev_b32_e32 v19, 2, v117
	s_and_b64 s[4:5], s[4:5], s[6:7]
	s_mov_b64 s[10:11], exec
.LBB13_12:                              ;   Parent Loop BB13_9 Depth=1
                                        ; =>  This Inner Loop Header: Depth=2
	v_readfirstlane_b32 s12, v2
	v_readfirstlane_b32 s13, v3
	;; [unrolled: 1-line block ×4, first 2 shown]
	v_cmp_eq_u64_e64 s[6:7], s[12:13], v[2:3]
	v_cmp_eq_u64_e64 s[8:9], s[14:15], v[4:5]
	s_and_b64 s[6:7], s[6:7], s[8:9]
	s_and_saveexec_b64 s[6:7], s[6:7]
	s_nop 0
	buffer_load_dwordx4 v[32:35], v19, s[12:15], 0 offen
                                        ; implicit-def: $vgpr19
	s_xor_b64 exec, exec, s[6:7]
	s_cbranch_execnz .LBB13_12
; %bb.13:                               ;   in Loop: Header=BB13_9 Depth=1
	s_mov_b64 exec, s[10:11]
	flat_load_dword v19, v[8:9] offset:96
	s_waitcnt vmcnt(0)
	v_cndmask_b32_e64 v123, 0, v32, s[4:5]
	v_lshrrev_b32_e32 v32, v48, v29
	v_mul_lo_u32 v29, v32, v36
	v_cndmask_b32_e64 v38, 0, v33, s[4:5]
	v_sub_u32_e32 v33, v28, v29
	v_sub_u32_e32 v13, v33, v13
	v_mul_lo_u32 v28, v13, v110
	v_sub_u32_e32 v14, v32, v14
	v_add_u32_e32 v13, v28, v1
	v_cndmask_b32_e64 v54, 0, v35, s[4:5]
	v_cndmask_b32_e64 v124, 0, v34, s[4:5]
	v_cmp_le_i32_e64 s[4:5], v16, v13
	v_cmp_gt_i32_e64 s[6:7], v17, v13
	s_and_b64 s[4:5], s[4:5], s[6:7]
	s_and_b64 s[8:9], s[20:21], s[4:5]
	v_mul_lo_u32 v28, v28, v52
	s_mov_b64 s[10:11], exec
	s_waitcnt lgkmcnt(0)
	v_mul_lo_u32 v14, v14, v19
	v_add_u32_e32 v1, v14, v0
	v_cmp_le_i32_e64 s[4:5], v27, v1
	v_cmp_gt_i32_e64 s[6:7], v18, v1
	v_mul_lo_u32 v0, v14, v30
	s_and_b64 s[4:5], s[4:5], s[6:7]
	v_add3_u32 v34, v15, v0, v28
	s_and_b64 s[4:5], s[8:9], s[4:5]
	v_lshlrev_b32_e32 v0, 2, v34
	s_and_b64 s[4:5], vcc, s[4:5]
.LBB13_14:                              ;   Parent Loop BB13_9 Depth=1
                                        ; =>  This Inner Loop Header: Depth=2
	v_readfirstlane_b32 s12, v22
	v_readfirstlane_b32 s13, v23
	;; [unrolled: 1-line block ×4, first 2 shown]
	v_cmp_eq_u64_e64 s[6:7], s[12:13], v[22:23]
	v_cmp_eq_u64_e64 s[8:9], s[14:15], v[24:25]
	s_and_b64 s[6:7], s[6:7], s[8:9]
	s_and_saveexec_b64 s[6:7], s[6:7]
	s_nop 0
	buffer_load_dwordx4 v[28:31], v0, s[12:15], 0 offen
                                        ; implicit-def: $vgpr0
	s_xor_b64 exec, exec, s[6:7]
	s_cbranch_execnz .LBB13_14
; %bb.15:                               ;   in Loop: Header=BB13_9 Depth=1
	s_mov_b64 exec, s[10:11]
	flat_load_dwordx2 v[106:107], v[8:9] offset:24
	v_lshrrev_b32_e32 v0, v48, v37
	s_waitcnt vmcnt(0)
	v_cndmask_b32_e64 v121, 0, v28, s[4:5]
	v_mul_lo_u32 v28, v0, v36
	v_cndmask_b32_e64 v14, 0, v29, s[4:5]
	v_add3_u32 v26, v26, v34, v116
	v_sub_u32_e32 v29, v0, v32
	v_sub_u32_e32 v116, v12, v28
	v_mul_lo_u32 v12, v29, v19
	v_sub_u32_e32 v19, v116, v33
	v_add_u32_e32 v1, v12, v1
	v_mul_lo_u32 v19, v19, v110
	v_cndmask_b32_e64 v52, 0, v31, s[4:5]
	v_cndmask_b32_e64 v15, 0, v30, s[4:5]
	v_cmp_le_i32_e64 s[4:5], v27, v1
	v_cmp_gt_i32_e64 s[6:7], v18, v1
	v_add_u32_e32 v13, v19, v13
	s_and_b64 s[8:9], s[4:5], s[6:7]
	v_cmp_le_i32_e64 s[4:5], v16, v13
	v_cmp_gt_i32_e64 s[6:7], v17, v13
	s_and_b64 s[4:5], s[4:5], s[6:7]
	s_and_b64 s[4:5], s[18:19], s[4:5]
	;; [unrolled: 1-line block ×3, first 2 shown]
	s_and_b64 vcc, vcc, s[4:5]
	s_mov_b64 s[12:13], exec
	s_waitcnt lgkmcnt(0)
	v_mul_lo_u32 v12, v12, v106
	v_mul_lo_u32 v16, v19, v107
	v_add3_u32 v12, v26, v12, v16
	v_lshlrev_b32_e32 v26, 2, v12
.LBB13_16:                              ;   Parent Loop BB13_9 Depth=1
                                        ; =>  This Inner Loop Header: Depth=2
	v_readfirstlane_b32 s8, v22
	v_readfirstlane_b32 s9, v23
	;; [unrolled: 1-line block ×4, first 2 shown]
	v_cmp_eq_u64_e64 s[4:5], s[8:9], v[22:23]
	v_cmp_eq_u64_e64 s[6:7], s[10:11], v[24:25]
	s_and_b64 s[4:5], s[4:5], s[6:7]
	s_and_saveexec_b64 s[4:5], s[4:5]
	s_nop 0
	buffer_load_dwordx4 v[16:19], v26, s[8:11], 0 offen
                                        ; implicit-def: $vgpr26
	s_xor_b64 exec, exec, s[4:5]
	s_cbranch_execnz .LBB13_16
; %bb.17:                               ;   in Loop: Header=BB13_9 Depth=1
	s_mov_b64 exec, s[12:13]
	s_waitcnt vmcnt(0)
	v_cndmask_b32_e32 v48, 0, v19, vcc
	v_cndmask_b32_e32 v122, 0, v18, vcc
	s_waitcnt lgkmcnt(0)
	s_barrier
	ds_read_b128 v[26:29], v108
	ds_read_b128 v[30:33], v109 offset:16384
	v_cndmask_b32_e32 v111, 0, v17, vcc
	v_cndmask_b32_e32 v120, 0, v16, vcc
	ds_read_b128 v[16:19], v109 offset:16640
	ds_read_b128 v[34:37], v108 offset:256
	s_waitcnt lgkmcnt(2)
	;;#ASMSTART
	
             v_fmac_f32 v104, v26, v30 
             
	;;#ASMEND
	;;#ASMSTART
	
             v_fmac_f32 v105, v26, v31 
             
	;;#ASMEND
	;; [unrolled: 5-line block ×16, first 2 shown]
	s_waitcnt lgkmcnt(1)
	;;#ASMSTART
	
             v_fmac_f32 v92, v26, v16 
             
	;;#ASMEND
	;;#ASMSTART
	
             v_fmac_f32 v93, v26, v17 
             
	;;#ASMEND
	;; [unrolled: 5-line block ×16, first 2 shown]
	ds_read_b128 v[26:29], v108 offset:512
	s_waitcnt lgkmcnt(1)
	;;#ASMSTART
	
             v_fmac_f32 v60, v34, v30 
             
	;;#ASMEND
	;;#ASMSTART
	
             v_fmac_f32 v61, v34, v31 
             
	;;#ASMEND
	;; [unrolled: 5-line block ×16, first 2 shown]
	ds_read_b128 v[30:33], v109 offset:16896
	;;#ASMSTART
	
             v_fmac_f32 v56, v34, v16 
             
	;;#ASMEND
	;;#ASMSTART
	
             v_fmac_f32 v57, v34, v17 
             
	;;#ASMEND
	;; [unrolled: 5-line block ×16, first 2 shown]
	ds_read_b128 v[16:19], v109 offset:17152
	ds_read_b128 v[34:37], v108 offset:768
	s_waitcnt lgkmcnt(2)
	;;#ASMSTART
	
             v_fmac_f32 v104, v26, v30 
             
	;;#ASMEND
	;;#ASMSTART
	
             v_fmac_f32 v105, v26, v31 
             
	;;#ASMEND
	;; [unrolled: 5-line block ×16, first 2 shown]
	s_waitcnt lgkmcnt(1)
	;;#ASMSTART
	
             v_fmac_f32 v92, v26, v16 
             
	;;#ASMEND
	;;#ASMSTART
	
             v_fmac_f32 v93, v26, v17 
             
	;;#ASMEND
	;; [unrolled: 5-line block ×16, first 2 shown]
	ds_read_b128 v[26:29], v108 offset:1024
	s_waitcnt lgkmcnt(1)
	;;#ASMSTART
	
             v_fmac_f32 v60, v34, v30 
             
	;;#ASMEND
	;;#ASMSTART
	
             v_fmac_f32 v61, v34, v31 
             
	;;#ASMEND
	;; [unrolled: 5-line block ×16, first 2 shown]
	ds_read_b128 v[30:33], v109 offset:17408
	;;#ASMSTART
	
             v_fmac_f32 v56, v34, v16 
             
	;;#ASMEND
	;;#ASMSTART
	
             v_fmac_f32 v57, v34, v17 
             
	;;#ASMEND
	;;#ASMSTART
	
             v_fmac_f32 v46, v34, v18 
             
	;;#ASMEND
	;;#ASMSTART
	
             v_fmac_f32 v47, v34, v19 
             
	;;#ASMEND
	;;#ASMSTART
	
             v_fmac_f32 v86, v35, v16 
             
	;;#ASMEND
	;;#ASMSTART
	
             v_fmac_f32 v87, v35, v17 
             
	;;#ASMEND
	;;#ASMSTART
	
             v_fmac_f32 v84, v35, v18 
             
	;;#ASMEND
	;;#ASMSTART
	
             v_fmac_f32 v85, v35, v19 
             
	;;#ASMEND
	;;#ASMSTART
	
             v_fmac_f32 v102, v36, v16 
             
	;;#ASMEND
	;;#ASMSTART
	
             v_fmac_f32 v103, v36, v17 
             
	;;#ASMEND
	;;#ASMSTART
	
             v_fmac_f32 v100, v36, v18 
             
	;;#ASMEND
	;;#ASMSTART
	
             v_fmac_f32 v101, v36, v19 
             
	;;#ASMEND
	;;#ASMSTART
	
             v_fmac_f32 v118, v37, v16 
             
	;;#ASMEND
	;;#ASMSTART
	
             v_fmac_f32 v119, v37, v17 
             
	;;#ASMEND
	;;#ASMSTART
	
             v_fmac_f32 v40, v37, v18 
             
	;;#ASMEND
	;;#ASMSTART
	
             v_fmac_f32 v41, v37, v19 
             
	;;#ASMEND
	ds_read_b128 v[16:19], v109 offset:17664
	ds_read_b128 v[34:37], v108 offset:1280
	s_waitcnt lgkmcnt(2)
	;;#ASMSTART
	
             v_fmac_f32 v104, v26, v30 
             
	;;#ASMEND
	;;#ASMSTART
	
             v_fmac_f32 v105, v26, v31 
             
	;;#ASMEND
	;; [unrolled: 5-line block ×16, first 2 shown]
	s_waitcnt lgkmcnt(1)
	;;#ASMSTART
	
             v_fmac_f32 v92, v26, v16 
             
	;;#ASMEND
	;;#ASMSTART
	
             v_fmac_f32 v93, v26, v17 
             
	;;#ASMEND
	;; [unrolled: 5-line block ×16, first 2 shown]
	ds_read_b128 v[26:29], v108 offset:1536
	s_waitcnt lgkmcnt(1)
	;;#ASMSTART
	
             v_fmac_f32 v60, v34, v30 
             
	;;#ASMEND
	;;#ASMSTART
	
             v_fmac_f32 v61, v34, v31 
             
	;;#ASMEND
	;; [unrolled: 5-line block ×16, first 2 shown]
	ds_read_b128 v[30:33], v109 offset:17920
	;;#ASMSTART
	
             v_fmac_f32 v56, v34, v16 
             
	;;#ASMEND
	;;#ASMSTART
	
             v_fmac_f32 v57, v34, v17 
             
	;;#ASMEND
	;; [unrolled: 5-line block ×16, first 2 shown]
	ds_read_b128 v[16:19], v109 offset:18176
	ds_read_b128 v[34:37], v108 offset:1792
	s_waitcnt lgkmcnt(2)
	;;#ASMSTART
	
             v_fmac_f32 v104, v26, v30 
             
	;;#ASMEND
	;;#ASMSTART
	
             v_fmac_f32 v105, v26, v31 
             
	;;#ASMEND
	;; [unrolled: 5-line block ×16, first 2 shown]
	s_waitcnt lgkmcnt(1)
	;;#ASMSTART
	
             v_fmac_f32 v92, v26, v16 
             
	;;#ASMEND
	;;#ASMSTART
	
             v_fmac_f32 v93, v26, v17 
             
	;;#ASMEND
	;;#ASMSTART
	
             v_fmac_f32 v90, v26, v18 
             
	;;#ASMEND
	;;#ASMSTART
	
             v_fmac_f32 v91, v26, v19 
             
	;;#ASMEND
	;;#ASMSTART
	
             v_fmac_f32 v70, v27, v16 
             
	;;#ASMEND
	;;#ASMSTART
	
             v_fmac_f32 v71, v27, v17 
             
	;;#ASMEND
	;;#ASMSTART
	
             v_fmac_f32 v68, v27, v18 
             
	;;#ASMEND
	;;#ASMSTART
	
             v_fmac_f32 v69, v27, v19 
             
	;;#ASMEND
	;;#ASMSTART
	
             v_fmac_f32 v66, v28, v16 
             
	;;#ASMEND
	;;#ASMSTART
	
             v_fmac_f32 v67, v28, v17 
             
	;;#ASMEND
	;;#ASMSTART
	
             v_fmac_f32 v64, v28, v18 
             
	;;#ASMEND
	;;#ASMSTART
	
             v_fmac_f32 v65, v28, v19 
             
	;;#ASMEND
	;;#ASMSTART
	
             v_fmac_f32 v82, v29, v16 
             
	;;#ASMEND
	;;#ASMSTART
	
             v_fmac_f32 v83, v29, v17 
             
	;;#ASMEND
	;;#ASMSTART
	
             v_fmac_f32 v80, v29, v18 
             
	;;#ASMEND
	;;#ASMSTART
	
             v_fmac_f32 v81, v29, v19 
             
	;;#ASMEND
	ds_read_b128 v[26:29], v108 offset:2048
	s_waitcnt lgkmcnt(1)
	;;#ASMSTART
	
             v_fmac_f32 v60, v34, v30 
             
	;;#ASMEND
	;;#ASMSTART
	
             v_fmac_f32 v61, v34, v31 
             
	;;#ASMEND
	;; [unrolled: 5-line block ×16, first 2 shown]
	ds_read_b128 v[30:33], v109 offset:18432
	;;#ASMSTART
	
             v_fmac_f32 v56, v34, v16 
             
	;;#ASMEND
	;;#ASMSTART
	
             v_fmac_f32 v57, v34, v17 
             
	;;#ASMEND
	;; [unrolled: 5-line block ×16, first 2 shown]
	ds_read_b128 v[16:19], v109 offset:18688
	ds_read_b128 v[34:37], v108 offset:2304
	s_waitcnt lgkmcnt(2)
	;;#ASMSTART
	
             v_fmac_f32 v104, v26, v30 
             
	;;#ASMEND
	;;#ASMSTART
	
             v_fmac_f32 v105, v26, v31 
             
	;;#ASMEND
	;; [unrolled: 5-line block ×16, first 2 shown]
	s_waitcnt lgkmcnt(1)
	;;#ASMSTART
	
             v_fmac_f32 v92, v26, v16 
             
	;;#ASMEND
	;;#ASMSTART
	
             v_fmac_f32 v93, v26, v17 
             
	;;#ASMEND
	;; [unrolled: 5-line block ×16, first 2 shown]
	ds_read_b128 v[26:29], v108 offset:2560
	s_waitcnt lgkmcnt(1)
	;;#ASMSTART
	
             v_fmac_f32 v60, v34, v30 
             
	;;#ASMEND
	;;#ASMSTART
	
             v_fmac_f32 v61, v34, v31 
             
	;;#ASMEND
	;; [unrolled: 5-line block ×16, first 2 shown]
	ds_read_b128 v[30:33], v109 offset:18944
	;;#ASMSTART
	
             v_fmac_f32 v56, v34, v16 
             
	;;#ASMEND
	;;#ASMSTART
	
             v_fmac_f32 v57, v34, v17 
             
	;;#ASMEND
	;; [unrolled: 5-line block ×16, first 2 shown]
	ds_read_b128 v[16:19], v109 offset:19200
	ds_read_b128 v[34:37], v108 offset:2816
	s_waitcnt lgkmcnt(2)
	;;#ASMSTART
	
             v_fmac_f32 v104, v26, v30 
             
	;;#ASMEND
	;;#ASMSTART
	
             v_fmac_f32 v105, v26, v31 
             
	;;#ASMEND
	;; [unrolled: 5-line block ×16, first 2 shown]
	s_waitcnt lgkmcnt(1)
	;;#ASMSTART
	
             v_fmac_f32 v92, v26, v16 
             
	;;#ASMEND
	;;#ASMSTART
	
             v_fmac_f32 v93, v26, v17 
             
	;;#ASMEND
	;; [unrolled: 5-line block ×16, first 2 shown]
	ds_read_b128 v[26:29], v108 offset:3072
	s_waitcnt lgkmcnt(1)
	;;#ASMSTART
	
             v_fmac_f32 v60, v34, v30 
             
	;;#ASMEND
	;;#ASMSTART
	
             v_fmac_f32 v61, v34, v31 
             
	;;#ASMEND
	;; [unrolled: 5-line block ×16, first 2 shown]
	ds_read_b128 v[30:33], v109 offset:19456
	;;#ASMSTART
	
             v_fmac_f32 v56, v34, v16 
             
	;;#ASMEND
	;;#ASMSTART
	
             v_fmac_f32 v57, v34, v17 
             
	;;#ASMEND
	;; [unrolled: 5-line block ×16, first 2 shown]
	ds_read_b128 v[16:19], v109 offset:19712
	ds_read_b128 v[34:37], v108 offset:3328
	s_waitcnt lgkmcnt(2)
	;;#ASMSTART
	
             v_fmac_f32 v104, v26, v30 
             
	;;#ASMEND
	;;#ASMSTART
	
             v_fmac_f32 v105, v26, v31 
             
	;;#ASMEND
	;; [unrolled: 5-line block ×16, first 2 shown]
	s_waitcnt lgkmcnt(1)
	;;#ASMSTART
	
             v_fmac_f32 v92, v26, v16 
             
	;;#ASMEND
	;;#ASMSTART
	
             v_fmac_f32 v93, v26, v17 
             
	;;#ASMEND
	;; [unrolled: 5-line block ×16, first 2 shown]
	ds_read_b128 v[26:29], v108 offset:3584
	s_waitcnt lgkmcnt(1)
	;;#ASMSTART
	
             v_fmac_f32 v60, v34, v30 
             
	;;#ASMEND
	;;#ASMSTART
	
             v_fmac_f32 v61, v34, v31 
             
	;;#ASMEND
	;;#ASMSTART
	
             v_fmac_f32 v58, v34, v32 
             
	;;#ASMEND
	;;#ASMSTART
	
             v_fmac_f32 v59, v34, v33 
             
	;;#ASMEND
	;;#ASMSTART
	
             v_fmac_f32 v44, v35, v30 
             
	;;#ASMEND
	;;#ASMSTART
	
             v_fmac_f32 v45, v35, v31 
             
	;;#ASMEND
	;;#ASMSTART
	
             v_fmac_f32 v42, v35, v32 
             
	;;#ASMEND
	;;#ASMSTART
	
             v_fmac_f32 v43, v35, v33 
             
	;;#ASMEND
	;;#ASMSTART
	
             v_fmac_f32 v98, v36, v30 
             
	;;#ASMEND
	;;#ASMSTART
	
             v_fmac_f32 v99, v36, v31 
             
	;;#ASMEND
	;;#ASMSTART
	
             v_fmac_f32 v96, v36, v32 
             
	;;#ASMEND
	;;#ASMSTART
	
             v_fmac_f32 v97, v36, v33 
             
	;;#ASMEND
	;;#ASMSTART
	
             v_fmac_f32 v114, v37, v30 
             
	;;#ASMEND
	;;#ASMSTART
	
             v_fmac_f32 v115, v37, v31 
             
	;;#ASMEND
	;;#ASMSTART
	
             v_fmac_f32 v112, v37, v32 
             
	;;#ASMEND
	;;#ASMSTART
	
             v_fmac_f32 v113, v37, v33 
             
	;;#ASMEND
	ds_read_b128 v[30:33], v109 offset:19968
	;;#ASMSTART
	
             v_fmac_f32 v56, v34, v16 
             
	;;#ASMEND
	;;#ASMSTART
	
             v_fmac_f32 v57, v34, v17 
             
	;;#ASMEND
	;; [unrolled: 5-line block ×16, first 2 shown]
	ds_read_b128 v[16:19], v109 offset:20224
	ds_read_b128 v[34:37], v108 offset:3840
	s_waitcnt lgkmcnt(2)
	;;#ASMSTART
	
             v_fmac_f32 v104, v26, v30 
             
	;;#ASMEND
	;;#ASMSTART
	
             v_fmac_f32 v105, v26, v31 
             
	;;#ASMEND
	;; [unrolled: 5-line block ×16, first 2 shown]
	s_waitcnt lgkmcnt(1)
	;;#ASMSTART
	
             v_fmac_f32 v92, v26, v16 
             
	;;#ASMEND
	;;#ASMSTART
	
             v_fmac_f32 v93, v26, v17 
             
	;;#ASMEND
	;; [unrolled: 5-line block ×16, first 2 shown]
	ds_read_b128 v[26:29], v108 offset:4096
	s_waitcnt lgkmcnt(1)
	;;#ASMSTART
	
             v_fmac_f32 v60, v34, v30 
             
	;;#ASMEND
	;;#ASMSTART
	
             v_fmac_f32 v61, v34, v31 
             
	;;#ASMEND
	;; [unrolled: 5-line block ×16, first 2 shown]
	ds_read_b128 v[30:33], v109 offset:20480
	;;#ASMSTART
	
             v_fmac_f32 v56, v34, v16 
             
	;;#ASMEND
	;;#ASMSTART
	
             v_fmac_f32 v57, v34, v17 
             
	;;#ASMEND
	;; [unrolled: 5-line block ×16, first 2 shown]
	ds_read_b128 v[16:19], v109 offset:20736
	ds_read_b128 v[34:37], v108 offset:4352
	s_waitcnt lgkmcnt(2)
	;;#ASMSTART
	
             v_fmac_f32 v104, v26, v30 
             
	;;#ASMEND
	;;#ASMSTART
	
             v_fmac_f32 v105, v26, v31 
             
	;;#ASMEND
	;; [unrolled: 5-line block ×16, first 2 shown]
	s_waitcnt lgkmcnt(1)
	;;#ASMSTART
	
             v_fmac_f32 v92, v26, v16 
             
	;;#ASMEND
	;;#ASMSTART
	
             v_fmac_f32 v93, v26, v17 
             
	;;#ASMEND
	;; [unrolled: 5-line block ×16, first 2 shown]
	ds_read_b128 v[26:29], v108 offset:4608
	s_waitcnt lgkmcnt(1)
	;;#ASMSTART
	
             v_fmac_f32 v60, v34, v30 
             
	;;#ASMEND
	;;#ASMSTART
	
             v_fmac_f32 v61, v34, v31 
             
	;;#ASMEND
	;; [unrolled: 5-line block ×16, first 2 shown]
	ds_read_b128 v[30:33], v109 offset:20992
	;;#ASMSTART
	
             v_fmac_f32 v56, v34, v16 
             
	;;#ASMEND
	;;#ASMSTART
	
             v_fmac_f32 v57, v34, v17 
             
	;;#ASMEND
	;; [unrolled: 5-line block ×16, first 2 shown]
	ds_read_b128 v[16:19], v109 offset:21248
	ds_read_b128 v[34:37], v108 offset:4864
	s_waitcnt lgkmcnt(2)
	;;#ASMSTART
	
             v_fmac_f32 v104, v26, v30 
             
	;;#ASMEND
	;;#ASMSTART
	
             v_fmac_f32 v105, v26, v31 
             
	;;#ASMEND
	;; [unrolled: 5-line block ×16, first 2 shown]
	s_waitcnt lgkmcnt(1)
	;;#ASMSTART
	
             v_fmac_f32 v92, v26, v16 
             
	;;#ASMEND
	;;#ASMSTART
	
             v_fmac_f32 v93, v26, v17 
             
	;;#ASMEND
	;; [unrolled: 5-line block ×16, first 2 shown]
	ds_read_b128 v[26:29], v108 offset:5120
	s_waitcnt lgkmcnt(1)
	;;#ASMSTART
	
             v_fmac_f32 v60, v34, v30 
             
	;;#ASMEND
	;;#ASMSTART
	
             v_fmac_f32 v61, v34, v31 
             
	;;#ASMEND
	;; [unrolled: 5-line block ×16, first 2 shown]
	ds_read_b128 v[30:33], v109 offset:21504
	;;#ASMSTART
	
             v_fmac_f32 v56, v34, v16 
             
	;;#ASMEND
	;;#ASMSTART
	
             v_fmac_f32 v57, v34, v17 
             
	;;#ASMEND
	;; [unrolled: 5-line block ×16, first 2 shown]
	ds_read_b128 v[16:19], v109 offset:21760
	ds_read_b128 v[34:37], v108 offset:5376
	s_waitcnt lgkmcnt(2)
	;;#ASMSTART
	
             v_fmac_f32 v104, v26, v30 
             
	;;#ASMEND
	;;#ASMSTART
	
             v_fmac_f32 v105, v26, v31 
             
	;;#ASMEND
	;; [unrolled: 5-line block ×16, first 2 shown]
	s_waitcnt lgkmcnt(1)
	;;#ASMSTART
	
             v_fmac_f32 v92, v26, v16 
             
	;;#ASMEND
	;;#ASMSTART
	
             v_fmac_f32 v93, v26, v17 
             
	;;#ASMEND
	;; [unrolled: 5-line block ×16, first 2 shown]
	ds_read_b128 v[26:29], v108 offset:5632
	s_waitcnt lgkmcnt(1)
	;;#ASMSTART
	
             v_fmac_f32 v60, v34, v30 
             
	;;#ASMEND
	;;#ASMSTART
	
             v_fmac_f32 v61, v34, v31 
             
	;;#ASMEND
	;; [unrolled: 5-line block ×16, first 2 shown]
	ds_read_b128 v[30:33], v109 offset:22016
	;;#ASMSTART
	
             v_fmac_f32 v56, v34, v16 
             
	;;#ASMEND
	;;#ASMSTART
	
             v_fmac_f32 v57, v34, v17 
             
	;;#ASMEND
	;; [unrolled: 5-line block ×16, first 2 shown]
	ds_read_b128 v[16:19], v109 offset:22272
	ds_read_b128 v[34:37], v108 offset:5888
	s_waitcnt lgkmcnt(2)
	;;#ASMSTART
	
             v_fmac_f32 v104, v26, v30 
             
	;;#ASMEND
	;;#ASMSTART
	
             v_fmac_f32 v105, v26, v31 
             
	;;#ASMEND
	;; [unrolled: 5-line block ×16, first 2 shown]
	s_waitcnt lgkmcnt(1)
	;;#ASMSTART
	
             v_fmac_f32 v92, v26, v16 
             
	;;#ASMEND
	;;#ASMSTART
	
             v_fmac_f32 v93, v26, v17 
             
	;;#ASMEND
	;; [unrolled: 5-line block ×16, first 2 shown]
	ds_read_b128 v[26:29], v108 offset:6144
	s_waitcnt lgkmcnt(1)
	;;#ASMSTART
	
             v_fmac_f32 v60, v34, v30 
             
	;;#ASMEND
	;;#ASMSTART
	
             v_fmac_f32 v61, v34, v31 
             
	;;#ASMEND
	;; [unrolled: 5-line block ×16, first 2 shown]
	ds_read_b128 v[30:33], v109 offset:22528
	;;#ASMSTART
	
             v_fmac_f32 v56, v34, v16 
             
	;;#ASMEND
	;;#ASMSTART
	
             v_fmac_f32 v57, v34, v17 
             
	;;#ASMEND
	;; [unrolled: 5-line block ×16, first 2 shown]
	ds_read_b128 v[16:19], v109 offset:22784
	ds_read_b128 v[34:37], v108 offset:6400
	s_waitcnt lgkmcnt(2)
	;;#ASMSTART
	
             v_fmac_f32 v104, v26, v30 
             
	;;#ASMEND
	;;#ASMSTART
	
             v_fmac_f32 v105, v26, v31 
             
	;;#ASMEND
	;; [unrolled: 5-line block ×16, first 2 shown]
	s_waitcnt lgkmcnt(1)
	;;#ASMSTART
	
             v_fmac_f32 v92, v26, v16 
             
	;;#ASMEND
	;;#ASMSTART
	
             v_fmac_f32 v93, v26, v17 
             
	;;#ASMEND
	;; [unrolled: 5-line block ×16, first 2 shown]
	ds_read_b128 v[26:29], v108 offset:6656
	s_waitcnt lgkmcnt(1)
	;;#ASMSTART
	
             v_fmac_f32 v60, v34, v30 
             
	;;#ASMEND
	;;#ASMSTART
	
             v_fmac_f32 v61, v34, v31 
             
	;;#ASMEND
	;; [unrolled: 5-line block ×16, first 2 shown]
	ds_read_b128 v[30:33], v109 offset:23040
	;;#ASMSTART
	
             v_fmac_f32 v56, v34, v16 
             
	;;#ASMEND
	;;#ASMSTART
	
             v_fmac_f32 v57, v34, v17 
             
	;;#ASMEND
	;; [unrolled: 5-line block ×16, first 2 shown]
	ds_read_b128 v[16:19], v109 offset:23296
	ds_read_b128 v[34:37], v108 offset:6912
	s_waitcnt lgkmcnt(2)
	;;#ASMSTART
	
             v_fmac_f32 v104, v26, v30 
             
	;;#ASMEND
	;;#ASMSTART
	
             v_fmac_f32 v105, v26, v31 
             
	;;#ASMEND
	;; [unrolled: 5-line block ×16, first 2 shown]
	s_waitcnt lgkmcnt(1)
	;;#ASMSTART
	
             v_fmac_f32 v92, v26, v16 
             
	;;#ASMEND
	;;#ASMSTART
	
             v_fmac_f32 v93, v26, v17 
             
	;;#ASMEND
	;; [unrolled: 5-line block ×16, first 2 shown]
	ds_read_b128 v[26:29], v108 offset:7168
	s_waitcnt lgkmcnt(1)
	;;#ASMSTART
	
             v_fmac_f32 v60, v34, v30 
             
	;;#ASMEND
	;;#ASMSTART
	
             v_fmac_f32 v61, v34, v31 
             
	;;#ASMEND
	;; [unrolled: 5-line block ×16, first 2 shown]
	ds_read_b128 v[30:33], v109 offset:23552
	;;#ASMSTART
	
             v_fmac_f32 v56, v34, v16 
             
	;;#ASMEND
	;;#ASMSTART
	
             v_fmac_f32 v57, v34, v17 
             
	;;#ASMEND
	;; [unrolled: 5-line block ×16, first 2 shown]
	ds_read_b128 v[16:19], v109 offset:23808
	ds_read_b128 v[34:37], v108 offset:7424
	s_waitcnt lgkmcnt(2)
	;;#ASMSTART
	
             v_fmac_f32 v104, v26, v30 
             
	;;#ASMEND
	;;#ASMSTART
	
             v_fmac_f32 v105, v26, v31 
             
	;;#ASMEND
	;; [unrolled: 5-line block ×16, first 2 shown]
	s_waitcnt lgkmcnt(1)
	;;#ASMSTART
	
             v_fmac_f32 v92, v26, v16 
             
	;;#ASMEND
	;;#ASMSTART
	
             v_fmac_f32 v93, v26, v17 
             
	;;#ASMEND
	;; [unrolled: 5-line block ×16, first 2 shown]
	ds_read_b128 v[26:29], v108 offset:7680
	s_waitcnt lgkmcnt(1)
	;;#ASMSTART
	
             v_fmac_f32 v60, v34, v30 
             
	;;#ASMEND
	;;#ASMSTART
	
             v_fmac_f32 v61, v34, v31 
             
	;;#ASMEND
	;; [unrolled: 5-line block ×16, first 2 shown]
	ds_read_b128 v[30:33], v109 offset:24064
	;;#ASMSTART
	
             v_fmac_f32 v56, v34, v16 
             
	;;#ASMEND
	;;#ASMSTART
	
             v_fmac_f32 v57, v34, v17 
             
	;;#ASMEND
	;; [unrolled: 5-line block ×16, first 2 shown]
	ds_read_b128 v[16:19], v109 offset:24320
	ds_read_b128 v[34:37], v108 offset:7936
	s_waitcnt lgkmcnt(2)
	;;#ASMSTART
	
             v_fmac_f32 v104, v26, v30 
             
	;;#ASMEND
	;;#ASMSTART
	
             v_fmac_f32 v105, v26, v31 
             
	;;#ASMEND
	;; [unrolled: 5-line block ×16, first 2 shown]
	s_waitcnt lgkmcnt(1)
	;;#ASMSTART
	
             v_fmac_f32 v92, v26, v16 
             
	;;#ASMEND
	;;#ASMSTART
	
             v_fmac_f32 v93, v26, v17 
             
	;;#ASMEND
	;;#ASMSTART
	
             v_fmac_f32 v90, v26, v18 
             
	;;#ASMEND
	;;#ASMSTART
	
             v_fmac_f32 v91, v26, v19 
             
	;;#ASMEND
	;;#ASMSTART
	
             v_fmac_f32 v70, v27, v16 
             
	;;#ASMEND
	;;#ASMSTART
	
             v_fmac_f32 v71, v27, v17 
             
	;;#ASMEND
	;;#ASMSTART
	
             v_fmac_f32 v68, v27, v18 
             
	;;#ASMEND
	;;#ASMSTART
	
             v_fmac_f32 v69, v27, v19 
             
	;;#ASMEND
	;;#ASMSTART
	
             v_fmac_f32 v66, v28, v16 
             
	;;#ASMEND
	;;#ASMSTART
	
             v_fmac_f32 v67, v28, v17 
             
	;;#ASMEND
	;;#ASMSTART
	
             v_fmac_f32 v64, v28, v18 
             
	;;#ASMEND
	;;#ASMSTART
	
             v_fmac_f32 v65, v28, v19 
             
	;;#ASMEND
	;;#ASMSTART
	
             v_fmac_f32 v82, v29, v16 
             
	;;#ASMEND
	;;#ASMSTART
	
             v_fmac_f32 v83, v29, v17 
             
	;;#ASMEND
	;;#ASMSTART
	
             v_fmac_f32 v80, v29, v18 
             
	;;#ASMEND
	;;#ASMSTART
	
             v_fmac_f32 v81, v29, v19 
             
	;;#ASMEND
	s_waitcnt lgkmcnt(0)
	;;#ASMSTART
	
             v_fmac_f32 v60, v34, v30 
             
	;;#ASMEND
	;;#ASMSTART
	
             v_fmac_f32 v61, v34, v31 
             
	;;#ASMEND
	;; [unrolled: 5-line block ×29, first 2 shown]
	v_accvgpr_read_b32 v16, a9
	;;#ASMSTART
	
             v_fmac_f32 v119, v37, v17 
             
	;;#ASMEND
	;;#ASMSTART
	
             v_fmac_f32 v40, v37, v18 
             
	;;#ASMEND
	;; [unrolled: 5-line block ×3, first 2 shown]
	ds_write2st64_b32 v16, v14, v15 offset0:2 offset1:4
	ds_write2st64_b32 v16, v52, v120 offset0:6 offset1:8
	;; [unrolled: 1-line block ×3, first 2 shown]
	ds_write_b32 v16, v48 offset:3584
	v_accvgpr_read_b32 v14, a7
	ds_write2st64_b32 v14, v121, v53 offset0:32 offset1:96
	v_accvgpr_read_b32 v15, a8
	flat_load_dword v14, v[8:9] offset:276
	v_accvgpr_read_b32 v16, a14
	ds_write2st64_b32 v15, v50, v49 offset0:2 offset1:4
	ds_write2st64_b32 v15, v16, v123 offset0:6 offset1:8
	;; [unrolled: 1-line block ×3, first 2 shown]
	flat_load_dwordx3 v[32:34], v[8:9] offset:212
	ds_write_b32 v15, v54 offset:3584
	flat_load_dwordx3 v[36:38], v[8:9] offset:228
	flat_load_dwordx3 v[48:50], v[8:9] offset:196
	flat_load_dword v15, v[8:9] offset:128
	flat_load_dword v110, v[8:9] offset:112
	;; [unrolled: 1-line block ×3, first 2 shown]
	flat_load_dwordx2 v[106:107], v[8:9] offset:24
	flat_load_dwordx3 v[52:54], v[8:9] offset:28
	flat_load_dword v35, v[10:11] offset:48
	flat_load_dword v123, v[8:9] offset:260
	;; [unrolled: 1-line block ×3, first 2 shown]
	flat_load_dwordx4 v[16:19], v[8:9] offset:60
	flat_load_dword v31, v[8:9] offset:76
	flat_load_dwordx4 v[26:29], v[8:9] offset:44
	s_mov_b64 s[10:11], exec
	s_waitcnt vmcnt(0) lgkmcnt(0)
	v_mul_lo_u32 v120, v14, 12
	v_add_u32_e32 v125, v120, v125
	v_add_u32_e32 v111, v120, v51
	v_cmp_lt_i32_e64 s[4:5], v111, v123
	v_mul_hi_u32 v51, v125, v34
	v_add_u32_e32 v51, v125, v51
	v_lshrrev_b32_e32 v120, v38, v51
	v_mul_lo_u32 v50, v120, v50
	v_sub_u32_e32 v51, v125, v50
	v_sub_u32_e32 v50, v51, v39
	v_mul_hi_u32 v39, v120, v33
	v_add_u32_e32 v39, v120, v39
	v_lshrrev_b32_e32 v39, v37, v39
	v_mul_lo_u32 v49, v39, v49
	v_sub_u32_e32 v122, v120, v49
	v_mul_hi_u32 v120, v39, v32
	v_add_u32_e32 v120, v39, v120
	v_lshrrev_b32_e32 v124, v36, v120
	v_sub_u32_e32 v49, v122, v126
	v_mul_lo_u32 v120, v124, v48
	v_sub_u32_e32 v39, v39, v120
	v_mul_lo_u32 v49, v49, v15
	v_sub_u32_e32 v0, v124, v0
	v_sub_u32_e32 v120, v39, v116
	v_add_u32_e32 v116, v49, v127
	v_sub_u32_e32 v18, v18, v31
	v_mul_lo_u32 v120, v120, v110
	v_mul_lo_u32 v126, v0, v121
	v_cmp_le_i32_e64 s[6:7], v19, v116
	v_cmp_gt_i32_e64 s[8:9], v18, v116
	v_add_u32_e32 v0, v126, v1
	v_add_u32_e32 v1, v120, v13
	s_and_b64 s[6:7], s[6:7], s[8:9]
	v_sub_u32_e32 v17, v29, v17
	v_mul_lo_u32 v49, v49, v53
	v_mul_lo_u32 v50, v54, v50
	s_and_b64 s[8:9], s[4:5], s[6:7]
	v_cmp_le_i32_e64 s[4:5], v16, v1
	v_cmp_gt_i32_e64 s[6:7], v17, v1
	v_mul_lo_u32 v13, v126, v106
	v_mul_lo_u32 v107, v120, v107
	v_add3_u32 v12, v50, v12, v49
	s_and_b64 s[4:5], s[4:5], s[6:7]
	v_sub_u32_e32 v26, v26, v28
	v_add3_u32 v53, v12, v13, v107
	v_mul_lo_u32 v12, v35, 12
	s_and_b64 s[8:9], s[8:9], s[4:5]
	v_cmp_le_i32_e64 s[4:5], v27, v0
	v_cmp_gt_i32_e64 s[6:7], v26, v0
	v_add_u32_e32 v49, v12, v55
	v_add_u32_e32 v50, v12, v117
	v_accvgpr_read_b32 v12, a11
	s_and_b64 s[4:5], s[4:5], s[6:7]
	v_cmp_lt_i32_e32 vcc, v12, v30
	s_and_b64 s[4:5], s[8:9], s[4:5]
	s_and_b64 s[4:5], vcc, s[4:5]
	v_lshlrev_b32_e32 v12, 2, v53
.LBB13_18:                              ;   Parent Loop BB13_9 Depth=1
                                        ; =>  This Inner Loop Header: Depth=2
	v_readfirstlane_b32 s12, v22
	v_readfirstlane_b32 s13, v23
	;; [unrolled: 1-line block ×4, first 2 shown]
	v_cmp_eq_u64_e64 s[6:7], s[12:13], v[22:23]
	v_cmp_eq_u64_e64 s[8:9], s[14:15], v[24:25]
	s_and_b64 s[6:7], s[6:7], s[8:9]
	s_and_saveexec_b64 s[6:7], s[6:7]
	s_nop 0
	buffer_load_dwordx4 v[28:31], v12, s[12:15], 0 offen
                                        ; implicit-def: $vgpr12
	s_xor_b64 exec, exec, s[6:7]
	s_cbranch_execnz .LBB13_18
; %bb.19:                               ;   in Loop: Header=BB13_9 Depth=1
	s_mov_b64 exec, s[10:11]
	flat_load_dwordx2 v[54:55], v[8:9] offset:200
	flat_load_dwordx2 v[126:127], v[8:9] offset:32
	s_waitcnt vmcnt(0)
	v_cndmask_b32_e64 v12, 0, v31, s[4:5]
	v_accvgpr_write_b32 a14, v12
	v_cndmask_b32_e64 v12, 0, v30, s[4:5]
	v_accvgpr_write_b32 a15, v12
	;; [unrolled: 2-line block ×3, first 2 shown]
	v_lshlrev_b32_e32 v12, 2, v14
	v_add_u32_e32 v107, v12, v111
	v_add_u32_e32 v12, v12, v125
	v_mul_hi_u32 v13, v12, v34
	v_add_u32_e32 v13, v12, v13
	v_cndmask_b32_e64 v120, 0, v28, s[4:5]
	v_lshrrev_b32_e32 v28, v38, v13
	v_mul_hi_u32 v13, v28, v33
	v_add_u32_e32 v13, v28, v13
	v_lshrrev_b32_e32 v29, v37, v13
	v_mul_hi_u32 v13, v29, v32
	v_add_u32_e32 v13, v29, v13
	v_lshrrev_b32_e32 v14, v36, v13
	v_mul_lo_u32 v13, v14, v48
	v_sub_u32_e32 v30, v14, v124
	v_sub_u32_e32 v13, v29, v13
	v_mul_lo_u32 v30, v30, v121
	v_sub_u32_e32 v31, v13, v39
	v_add_u32_e32 v0, v30, v0
	v_mul_lo_u32 v31, v31, v110
	v_cmp_le_i32_e64 s[6:7], v27, v0
	v_cmp_gt_i32_e64 s[8:9], v26, v0
	v_add_u32_e32 v1, v31, v1
	s_and_b64 s[10:11], s[6:7], s[8:9]
	v_cmp_le_i32_e64 s[6:7], v16, v1
	v_mul_lo_u32 v30, v30, v106
	v_cmp_gt_i32_e64 s[8:9], v17, v1
	s_and_b64 s[12:13], s[6:7], s[8:9]
	v_cmp_lt_i32_e64 s[4:5], v107, v123
	v_mul_lo_u32 v26, v31, v52
	s_waitcnt lgkmcnt(0)
	v_mul_lo_u32 v16, v29, v54
	v_mul_lo_u32 v17, v28, v55
	v_sub_u32_e32 v106, v28, v16
	v_sub_u32_e32 v39, v12, v17
	;; [unrolled: 1-line block ×3, first 2 shown]
	v_mul_lo_u32 v17, v17, v15
	v_add_u32_e32 v15, v17, v116
	v_cmp_le_i32_e64 s[6:7], v19, v15
	v_cmp_gt_i32_e64 s[8:9], v18, v15
	v_sub_u32_e32 v16, v39, v51
	s_and_b64 s[6:7], s[6:7], s[8:9]
	v_mul_lo_u32 v16, v127, v16
	v_mul_lo_u32 v17, v126, v17
	s_and_b64 s[4:5], s[4:5], s[6:7]
	v_add3_u32 v16, v16, v53, v17
	s_and_b64 s[4:5], s[4:5], s[12:13]
	v_add3_u32 v55, v16, v30, v26
	s_and_b64 s[4:5], s[10:11], s[4:5]
	v_lshlrev_b32_e32 v26, 2, v55
	s_and_b64 vcc, vcc, s[4:5]
	s_mov_b64 s[12:13], exec
.LBB13_20:                              ;   Parent Loop BB13_9 Depth=1
                                        ; =>  This Inner Loop Header: Depth=2
	v_readfirstlane_b32 s8, v22
	v_readfirstlane_b32 s9, v23
	;; [unrolled: 1-line block ×4, first 2 shown]
	v_cmp_eq_u64_e64 s[4:5], s[8:9], v[22:23]
	v_cmp_eq_u64_e64 s[6:7], s[10:11], v[24:25]
	s_and_b64 s[4:5], s[4:5], s[6:7]
	s_and_saveexec_b64 s[4:5], s[4:5]
	s_nop 0
	buffer_load_dwordx4 v[16:19], v26, s[8:11], 0 offen
                                        ; implicit-def: $vgpr26
	s_xor_b64 exec, exec, s[4:5]
	s_cbranch_execnz .LBB13_20
; %bb.21:                               ;   in Loop: Header=BB13_9 Depth=1
	s_mov_b64 exec, s[12:13]
	flat_load_dword v26, v[10:11] offset:32
	flat_load_dword v28, v[10:11] offset:20
	s_waitcnt vmcnt(0)
	v_cndmask_b32_e32 v122, 0, v16, vcc
	v_accvgpr_read_b32 v16, a10
	v_cndmask_b32_e32 v38, 0, v19, vcc
	v_cndmask_b32_e32 v52, 0, v18, vcc
	;; [unrolled: 1-line block ×3, first 2 shown]
	v_lshlrev_b32_e32 v27, 2, v50
	s_mov_b64 s[10:11], exec
	s_waitcnt lgkmcnt(0)
	v_cmp_gt_i32_e64 s[4:5], v26, v49
	v_cmp_gt_i32_e32 vcc, v28, v16
	s_and_b64 s[4:5], vcc, s[4:5]
.LBB13_22:                              ;   Parent Loop BB13_9 Depth=1
                                        ; =>  This Inner Loop Header: Depth=2
	v_readfirstlane_b32 s12, v2
	v_readfirstlane_b32 s13, v3
	;; [unrolled: 1-line block ×4, first 2 shown]
	v_cmp_eq_u64_e64 s[6:7], s[12:13], v[2:3]
	v_cmp_eq_u64_e64 s[8:9], s[14:15], v[4:5]
	s_and_b64 s[6:7], s[6:7], s[8:9]
	s_and_saveexec_b64 s[6:7], s[6:7]
	s_nop 0
	buffer_load_dwordx4 v[16:19], v27, s[12:15], 0 offen
                                        ; implicit-def: $vgpr27
	s_xor_b64 exec, exec, s[6:7]
	s_cbranch_execnz .LBB13_22
; %bb.23:                               ;   in Loop: Header=BB13_9 Depth=1
	s_mov_b64 exec, s[10:11]
	s_waitcnt vmcnt(0)
	v_cndmask_b32_e64 v127, 0, v16, s[4:5]
	v_lshlrev_b32_e32 v16, 2, v35
	v_add_u32_e32 v116, v16, v49
	v_cndmask_b32_e64 v123, 0, v19, s[4:5]
	v_cndmask_b32_e64 v125, 0, v18, s[4:5]
	;; [unrolled: 1-line block ×3, first 2 shown]
	v_add_u32_e32 v117, v16, v50
	v_cmp_gt_i32_e64 s[4:5], v26, v116
	v_lshlrev_b32_e32 v27, 2, v117
	s_and_b64 vcc, vcc, s[4:5]
	s_mov_b64 s[12:13], exec
.LBB13_24:                              ;   Parent Loop BB13_9 Depth=1
                                        ; =>  This Inner Loop Header: Depth=2
	v_readfirstlane_b32 s8, v2
	v_readfirstlane_b32 s9, v3
	;; [unrolled: 1-line block ×4, first 2 shown]
	v_cmp_eq_u64_e64 s[4:5], s[8:9], v[2:3]
	v_cmp_eq_u64_e64 s[6:7], s[10:11], v[4:5]
	s_and_b64 s[4:5], s[4:5], s[6:7]
	s_and_saveexec_b64 s[4:5], s[4:5]
	s_nop 0
	buffer_load_dwordx4 v[16:19], v27, s[8:11], 0 offen
                                        ; implicit-def: $vgpr27
	s_xor_b64 exec, exec, s[4:5]
	s_cbranch_execnz .LBB13_24
; %bb.25:                               ;   in Loop: Header=BB13_9 Depth=1
	s_mov_b64 exec, s[12:13]
	s_waitcnt vmcnt(0)
	v_cndmask_b32_e32 v124, 0, v19, vcc
	v_cndmask_b32_e32 v110, 0, v18, vcc
	s_waitcnt lgkmcnt(0)
	s_barrier
	ds_read_b128 v[26:29], v108 offset:8192
	ds_read_b128 v[30:33], v109 offset:24576
	v_cndmask_b32_e32 v53, 0, v17, vcc
	v_cndmask_b32_e32 v54, 0, v16, vcc
	ds_read_b128 v[16:19], v109 offset:24832
	ds_read_b128 v[34:37], v108 offset:8448
	s_waitcnt lgkmcnt(2)
	;;#ASMSTART
	
             v_fmac_f32 v104, v26, v30 
             
	;;#ASMEND
	;;#ASMSTART
	
             v_fmac_f32 v105, v26, v31 
             
	;;#ASMEND
	;; [unrolled: 5-line block ×16, first 2 shown]
	s_waitcnt lgkmcnt(1)
	;;#ASMSTART
	
             v_fmac_f32 v92, v26, v16 
             
	;;#ASMEND
	;;#ASMSTART
	
             v_fmac_f32 v93, v26, v17 
             
	;;#ASMEND
	;; [unrolled: 5-line block ×16, first 2 shown]
	ds_read_b128 v[26:29], v108 offset:8704
	s_waitcnt lgkmcnt(1)
	;;#ASMSTART
	
             v_fmac_f32 v60, v34, v30 
             
	;;#ASMEND
	;;#ASMSTART
	
             v_fmac_f32 v61, v34, v31 
             
	;;#ASMEND
	;; [unrolled: 5-line block ×16, first 2 shown]
	ds_read_b128 v[30:33], v109 offset:25088
	;;#ASMSTART
	
             v_fmac_f32 v56, v34, v16 
             
	;;#ASMEND
	;;#ASMSTART
	
             v_fmac_f32 v57, v34, v17 
             
	;;#ASMEND
	;; [unrolled: 5-line block ×16, first 2 shown]
	ds_read_b128 v[16:19], v109 offset:25344
	ds_read_b128 v[34:37], v108 offset:8960
	s_waitcnt lgkmcnt(2)
	;;#ASMSTART
	
             v_fmac_f32 v104, v26, v30 
             
	;;#ASMEND
	;;#ASMSTART
	
             v_fmac_f32 v105, v26, v31 
             
	;;#ASMEND
	;; [unrolled: 5-line block ×16, first 2 shown]
	s_waitcnt lgkmcnt(1)
	;;#ASMSTART
	
             v_fmac_f32 v92, v26, v16 
             
	;;#ASMEND
	;;#ASMSTART
	
             v_fmac_f32 v93, v26, v17 
             
	;;#ASMEND
	;; [unrolled: 5-line block ×16, first 2 shown]
	ds_read_b128 v[26:29], v108 offset:9216
	s_waitcnt lgkmcnt(1)
	;;#ASMSTART
	
             v_fmac_f32 v60, v34, v30 
             
	;;#ASMEND
	;;#ASMSTART
	
             v_fmac_f32 v61, v34, v31 
             
	;;#ASMEND
	;; [unrolled: 5-line block ×16, first 2 shown]
	ds_read_b128 v[30:33], v109 offset:25600
	;;#ASMSTART
	
             v_fmac_f32 v56, v34, v16 
             
	;;#ASMEND
	;;#ASMSTART
	
             v_fmac_f32 v57, v34, v17 
             
	;;#ASMEND
	;; [unrolled: 5-line block ×16, first 2 shown]
	ds_read_b128 v[16:19], v109 offset:25856
	ds_read_b128 v[34:37], v108 offset:9472
	s_waitcnt lgkmcnt(2)
	;;#ASMSTART
	
             v_fmac_f32 v104, v26, v30 
             
	;;#ASMEND
	;;#ASMSTART
	
             v_fmac_f32 v105, v26, v31 
             
	;;#ASMEND
	;; [unrolled: 5-line block ×16, first 2 shown]
	s_waitcnt lgkmcnt(1)
	;;#ASMSTART
	
             v_fmac_f32 v92, v26, v16 
             
	;;#ASMEND
	;;#ASMSTART
	
             v_fmac_f32 v93, v26, v17 
             
	;;#ASMEND
	;; [unrolled: 5-line block ×16, first 2 shown]
	ds_read_b128 v[26:29], v108 offset:9728
	s_waitcnt lgkmcnt(1)
	;;#ASMSTART
	
             v_fmac_f32 v60, v34, v30 
             
	;;#ASMEND
	;;#ASMSTART
	
             v_fmac_f32 v61, v34, v31 
             
	;;#ASMEND
	;; [unrolled: 5-line block ×16, first 2 shown]
	ds_read_b128 v[30:33], v109 offset:26112
	;;#ASMSTART
	
             v_fmac_f32 v56, v34, v16 
             
	;;#ASMEND
	;;#ASMSTART
	
             v_fmac_f32 v57, v34, v17 
             
	;;#ASMEND
	;; [unrolled: 5-line block ×16, first 2 shown]
	ds_read_b128 v[16:19], v109 offset:26368
	ds_read_b128 v[34:37], v108 offset:9984
	s_waitcnt lgkmcnt(2)
	;;#ASMSTART
	
             v_fmac_f32 v104, v26, v30 
             
	;;#ASMEND
	;;#ASMSTART
	
             v_fmac_f32 v105, v26, v31 
             
	;;#ASMEND
	;; [unrolled: 5-line block ×16, first 2 shown]
	s_waitcnt lgkmcnt(1)
	;;#ASMSTART
	
             v_fmac_f32 v92, v26, v16 
             
	;;#ASMEND
	;;#ASMSTART
	
             v_fmac_f32 v93, v26, v17 
             
	;;#ASMEND
	;; [unrolled: 5-line block ×16, first 2 shown]
	ds_read_b128 v[26:29], v108 offset:10240
	s_waitcnt lgkmcnt(1)
	;;#ASMSTART
	
             v_fmac_f32 v60, v34, v30 
             
	;;#ASMEND
	;;#ASMSTART
	
             v_fmac_f32 v61, v34, v31 
             
	;;#ASMEND
	;; [unrolled: 5-line block ×16, first 2 shown]
	ds_read_b128 v[30:33], v109 offset:26624
	;;#ASMSTART
	
             v_fmac_f32 v56, v34, v16 
             
	;;#ASMEND
	;;#ASMSTART
	
             v_fmac_f32 v57, v34, v17 
             
	;;#ASMEND
	;; [unrolled: 5-line block ×16, first 2 shown]
	ds_read_b128 v[16:19], v109 offset:26880
	ds_read_b128 v[34:37], v108 offset:10496
	s_waitcnt lgkmcnt(2)
	;;#ASMSTART
	
             v_fmac_f32 v104, v26, v30 
             
	;;#ASMEND
	;;#ASMSTART
	
             v_fmac_f32 v105, v26, v31 
             
	;;#ASMEND
	;; [unrolled: 5-line block ×16, first 2 shown]
	s_waitcnt lgkmcnt(1)
	;;#ASMSTART
	
             v_fmac_f32 v92, v26, v16 
             
	;;#ASMEND
	;;#ASMSTART
	
             v_fmac_f32 v93, v26, v17 
             
	;;#ASMEND
	;; [unrolled: 5-line block ×16, first 2 shown]
	ds_read_b128 v[26:29], v108 offset:10752
	s_waitcnt lgkmcnt(1)
	;;#ASMSTART
	
             v_fmac_f32 v60, v34, v30 
             
	;;#ASMEND
	;;#ASMSTART
	
             v_fmac_f32 v61, v34, v31 
             
	;;#ASMEND
	;; [unrolled: 5-line block ×16, first 2 shown]
	ds_read_b128 v[30:33], v109 offset:27136
	;;#ASMSTART
	
             v_fmac_f32 v56, v34, v16 
             
	;;#ASMEND
	;;#ASMSTART
	
             v_fmac_f32 v57, v34, v17 
             
	;;#ASMEND
	;; [unrolled: 5-line block ×16, first 2 shown]
	ds_read_b128 v[16:19], v109 offset:27392
	ds_read_b128 v[34:37], v108 offset:11008
	s_waitcnt lgkmcnt(2)
	;;#ASMSTART
	
             v_fmac_f32 v104, v26, v30 
             
	;;#ASMEND
	;;#ASMSTART
	
             v_fmac_f32 v105, v26, v31 
             
	;;#ASMEND
	;; [unrolled: 5-line block ×16, first 2 shown]
	s_waitcnt lgkmcnt(1)
	;;#ASMSTART
	
             v_fmac_f32 v92, v26, v16 
             
	;;#ASMEND
	;;#ASMSTART
	
             v_fmac_f32 v93, v26, v17 
             
	;;#ASMEND
	;; [unrolled: 5-line block ×16, first 2 shown]
	ds_read_b128 v[26:29], v108 offset:11264
	s_waitcnt lgkmcnt(1)
	;;#ASMSTART
	
             v_fmac_f32 v60, v34, v30 
             
	;;#ASMEND
	;;#ASMSTART
	
             v_fmac_f32 v61, v34, v31 
             
	;;#ASMEND
	;; [unrolled: 5-line block ×16, first 2 shown]
	ds_read_b128 v[30:33], v109 offset:27648
	;;#ASMSTART
	
             v_fmac_f32 v56, v34, v16 
             
	;;#ASMEND
	;;#ASMSTART
	
             v_fmac_f32 v57, v34, v17 
             
	;;#ASMEND
	;;#ASMSTART
	
             v_fmac_f32 v46, v34, v18 
             
	;;#ASMEND
	;;#ASMSTART
	
             v_fmac_f32 v47, v34, v19 
             
	;;#ASMEND
	;;#ASMSTART
	
             v_fmac_f32 v86, v35, v16 
             
	;;#ASMEND
	;;#ASMSTART
	
             v_fmac_f32 v87, v35, v17 
             
	;;#ASMEND
	;;#ASMSTART
	
             v_fmac_f32 v84, v35, v18 
             
	;;#ASMEND
	;;#ASMSTART
	
             v_fmac_f32 v85, v35, v19 
             
	;;#ASMEND
	;;#ASMSTART
	
             v_fmac_f32 v102, v36, v16 
             
	;;#ASMEND
	;;#ASMSTART
	
             v_fmac_f32 v103, v36, v17 
             
	;;#ASMEND
	;;#ASMSTART
	
             v_fmac_f32 v100, v36, v18 
             
	;;#ASMEND
	;;#ASMSTART
	
             v_fmac_f32 v101, v36, v19 
             
	;;#ASMEND
	;;#ASMSTART
	
             v_fmac_f32 v118, v37, v16 
             
	;;#ASMEND
	;;#ASMSTART
	
             v_fmac_f32 v119, v37, v17 
             
	;;#ASMEND
	;;#ASMSTART
	
             v_fmac_f32 v40, v37, v18 
             
	;;#ASMEND
	;;#ASMSTART
	
             v_fmac_f32 v41, v37, v19 
             
	;;#ASMEND
	ds_read_b128 v[16:19], v109 offset:27904
	ds_read_b128 v[34:37], v108 offset:11520
	s_waitcnt lgkmcnt(2)
	;;#ASMSTART
	
             v_fmac_f32 v104, v26, v30 
             
	;;#ASMEND
	;;#ASMSTART
	
             v_fmac_f32 v105, v26, v31 
             
	;;#ASMEND
	;; [unrolled: 5-line block ×16, first 2 shown]
	s_waitcnt lgkmcnt(1)
	;;#ASMSTART
	
             v_fmac_f32 v92, v26, v16 
             
	;;#ASMEND
	;;#ASMSTART
	
             v_fmac_f32 v93, v26, v17 
             
	;;#ASMEND
	;; [unrolled: 5-line block ×16, first 2 shown]
	ds_read_b128 v[26:29], v108 offset:11776
	s_waitcnt lgkmcnt(1)
	;;#ASMSTART
	
             v_fmac_f32 v60, v34, v30 
             
	;;#ASMEND
	;;#ASMSTART
	
             v_fmac_f32 v61, v34, v31 
             
	;;#ASMEND
	;; [unrolled: 5-line block ×16, first 2 shown]
	ds_read_b128 v[30:33], v109 offset:28160
	;;#ASMSTART
	
             v_fmac_f32 v56, v34, v16 
             
	;;#ASMEND
	;;#ASMSTART
	
             v_fmac_f32 v57, v34, v17 
             
	;;#ASMEND
	;; [unrolled: 5-line block ×16, first 2 shown]
	ds_read_b128 v[16:19], v109 offset:28416
	ds_read_b128 v[34:37], v108 offset:12032
	s_waitcnt lgkmcnt(2)
	;;#ASMSTART
	
             v_fmac_f32 v104, v26, v30 
             
	;;#ASMEND
	;;#ASMSTART
	
             v_fmac_f32 v105, v26, v31 
             
	;;#ASMEND
	;; [unrolled: 5-line block ×16, first 2 shown]
	s_waitcnt lgkmcnt(1)
	;;#ASMSTART
	
             v_fmac_f32 v92, v26, v16 
             
	;;#ASMEND
	;;#ASMSTART
	
             v_fmac_f32 v93, v26, v17 
             
	;;#ASMEND
	;; [unrolled: 5-line block ×16, first 2 shown]
	ds_read_b128 v[26:29], v108 offset:12288
	s_waitcnt lgkmcnt(1)
	;;#ASMSTART
	
             v_fmac_f32 v60, v34, v30 
             
	;;#ASMEND
	;;#ASMSTART
	
             v_fmac_f32 v61, v34, v31 
             
	;;#ASMEND
	;; [unrolled: 5-line block ×16, first 2 shown]
	ds_read_b128 v[30:33], v109 offset:28672
	;;#ASMSTART
	
             v_fmac_f32 v56, v34, v16 
             
	;;#ASMEND
	;;#ASMSTART
	
             v_fmac_f32 v57, v34, v17 
             
	;;#ASMEND
	;; [unrolled: 5-line block ×16, first 2 shown]
	ds_read_b128 v[16:19], v109 offset:28928
	ds_read_b128 v[34:37], v108 offset:12544
	s_waitcnt lgkmcnt(2)
	;;#ASMSTART
	
             v_fmac_f32 v104, v26, v30 
             
	;;#ASMEND
	;;#ASMSTART
	
             v_fmac_f32 v105, v26, v31 
             
	;;#ASMEND
	;; [unrolled: 5-line block ×16, first 2 shown]
	s_waitcnt lgkmcnt(1)
	;;#ASMSTART
	
             v_fmac_f32 v92, v26, v16 
             
	;;#ASMEND
	;;#ASMSTART
	
             v_fmac_f32 v93, v26, v17 
             
	;;#ASMEND
	;;#ASMSTART
	
             v_fmac_f32 v90, v26, v18 
             
	;;#ASMEND
	;;#ASMSTART
	
             v_fmac_f32 v91, v26, v19 
             
	;;#ASMEND
	;;#ASMSTART
	
             v_fmac_f32 v70, v27, v16 
             
	;;#ASMEND
	;;#ASMSTART
	
             v_fmac_f32 v71, v27, v17 
             
	;;#ASMEND
	;;#ASMSTART
	
             v_fmac_f32 v68, v27, v18 
             
	;;#ASMEND
	;;#ASMSTART
	
             v_fmac_f32 v69, v27, v19 
             
	;;#ASMEND
	;;#ASMSTART
	
             v_fmac_f32 v66, v28, v16 
             
	;;#ASMEND
	;;#ASMSTART
	
             v_fmac_f32 v67, v28, v17 
             
	;;#ASMEND
	;;#ASMSTART
	
             v_fmac_f32 v64, v28, v18 
             
	;;#ASMEND
	;;#ASMSTART
	
             v_fmac_f32 v65, v28, v19 
             
	;;#ASMEND
	;;#ASMSTART
	
             v_fmac_f32 v82, v29, v16 
             
	;;#ASMEND
	;;#ASMSTART
	
             v_fmac_f32 v83, v29, v17 
             
	;;#ASMEND
	;;#ASMSTART
	
             v_fmac_f32 v80, v29, v18 
             
	;;#ASMEND
	;;#ASMSTART
	
             v_fmac_f32 v81, v29, v19 
             
	;;#ASMEND
	ds_read_b128 v[26:29], v108 offset:12800
	s_waitcnt lgkmcnt(1)
	;;#ASMSTART
	
             v_fmac_f32 v60, v34, v30 
             
	;;#ASMEND
	;;#ASMSTART
	
             v_fmac_f32 v61, v34, v31 
             
	;;#ASMEND
	;; [unrolled: 5-line block ×16, first 2 shown]
	ds_read_b128 v[30:33], v109 offset:29184
	;;#ASMSTART
	
             v_fmac_f32 v56, v34, v16 
             
	;;#ASMEND
	;;#ASMSTART
	
             v_fmac_f32 v57, v34, v17 
             
	;;#ASMEND
	;; [unrolled: 5-line block ×16, first 2 shown]
	ds_read_b128 v[16:19], v109 offset:29440
	ds_read_b128 v[34:37], v108 offset:13056
	s_waitcnt lgkmcnt(2)
	;;#ASMSTART
	
             v_fmac_f32 v104, v26, v30 
             
	;;#ASMEND
	;;#ASMSTART
	
             v_fmac_f32 v105, v26, v31 
             
	;;#ASMEND
	;; [unrolled: 5-line block ×16, first 2 shown]
	s_waitcnt lgkmcnt(1)
	;;#ASMSTART
	
             v_fmac_f32 v92, v26, v16 
             
	;;#ASMEND
	;;#ASMSTART
	
             v_fmac_f32 v93, v26, v17 
             
	;;#ASMEND
	;; [unrolled: 5-line block ×16, first 2 shown]
	ds_read_b128 v[26:29], v108 offset:13312
	s_waitcnt lgkmcnt(1)
	;;#ASMSTART
	
             v_fmac_f32 v60, v34, v30 
             
	;;#ASMEND
	;;#ASMSTART
	
             v_fmac_f32 v61, v34, v31 
             
	;;#ASMEND
	;; [unrolled: 5-line block ×16, first 2 shown]
	ds_read_b128 v[30:33], v109 offset:29696
	;;#ASMSTART
	
             v_fmac_f32 v56, v34, v16 
             
	;;#ASMEND
	;;#ASMSTART
	
             v_fmac_f32 v57, v34, v17 
             
	;;#ASMEND
	;; [unrolled: 5-line block ×16, first 2 shown]
	ds_read_b128 v[16:19], v109 offset:29952
	ds_read_b128 v[34:37], v108 offset:13568
	s_waitcnt lgkmcnt(2)
	;;#ASMSTART
	
             v_fmac_f32 v104, v26, v30 
             
	;;#ASMEND
	;;#ASMSTART
	
             v_fmac_f32 v105, v26, v31 
             
	;;#ASMEND
	;; [unrolled: 5-line block ×16, first 2 shown]
	s_waitcnt lgkmcnt(1)
	;;#ASMSTART
	
             v_fmac_f32 v92, v26, v16 
             
	;;#ASMEND
	;;#ASMSTART
	
             v_fmac_f32 v93, v26, v17 
             
	;;#ASMEND
	;; [unrolled: 5-line block ×16, first 2 shown]
	ds_read_b128 v[26:29], v108 offset:13824
	s_waitcnt lgkmcnt(1)
	;;#ASMSTART
	
             v_fmac_f32 v60, v34, v30 
             
	;;#ASMEND
	;;#ASMSTART
	
             v_fmac_f32 v61, v34, v31 
             
	;;#ASMEND
	;; [unrolled: 5-line block ×16, first 2 shown]
	ds_read_b128 v[30:33], v109 offset:30208
	;;#ASMSTART
	
             v_fmac_f32 v56, v34, v16 
             
	;;#ASMEND
	;;#ASMSTART
	
             v_fmac_f32 v57, v34, v17 
             
	;;#ASMEND
	;; [unrolled: 5-line block ×16, first 2 shown]
	ds_read_b128 v[16:19], v109 offset:30464
	ds_read_b128 v[34:37], v108 offset:14080
	s_waitcnt lgkmcnt(2)
	;;#ASMSTART
	
             v_fmac_f32 v104, v26, v30 
             
	;;#ASMEND
	;;#ASMSTART
	
             v_fmac_f32 v105, v26, v31 
             
	;;#ASMEND
	;; [unrolled: 5-line block ×16, first 2 shown]
	s_waitcnt lgkmcnt(1)
	;;#ASMSTART
	
             v_fmac_f32 v92, v26, v16 
             
	;;#ASMEND
	;;#ASMSTART
	
             v_fmac_f32 v93, v26, v17 
             
	;;#ASMEND
	;;#ASMSTART
	
             v_fmac_f32 v90, v26, v18 
             
	;;#ASMEND
	;;#ASMSTART
	
             v_fmac_f32 v91, v26, v19 
             
	;;#ASMEND
	;;#ASMSTART
	
             v_fmac_f32 v70, v27, v16 
             
	;;#ASMEND
	;;#ASMSTART
	
             v_fmac_f32 v71, v27, v17 
             
	;;#ASMEND
	;;#ASMSTART
	
             v_fmac_f32 v68, v27, v18 
             
	;;#ASMEND
	;;#ASMSTART
	
             v_fmac_f32 v69, v27, v19 
             
	;;#ASMEND
	;;#ASMSTART
	
             v_fmac_f32 v66, v28, v16 
             
	;;#ASMEND
	;;#ASMSTART
	
             v_fmac_f32 v67, v28, v17 
             
	;;#ASMEND
	;;#ASMSTART
	
             v_fmac_f32 v64, v28, v18 
             
	;;#ASMEND
	;;#ASMSTART
	
             v_fmac_f32 v65, v28, v19 
             
	;;#ASMEND
	;;#ASMSTART
	
             v_fmac_f32 v82, v29, v16 
             
	;;#ASMEND
	;;#ASMSTART
	
             v_fmac_f32 v83, v29, v17 
             
	;;#ASMEND
	;;#ASMSTART
	
             v_fmac_f32 v80, v29, v18 
             
	;;#ASMEND
	;;#ASMSTART
	
             v_fmac_f32 v81, v29, v19 
             
	;;#ASMEND
	ds_read_b128 v[26:29], v108 offset:14336
	s_waitcnt lgkmcnt(1)
	;;#ASMSTART
	
             v_fmac_f32 v60, v34, v30 
             
	;;#ASMEND
	;;#ASMSTART
	
             v_fmac_f32 v61, v34, v31 
             
	;;#ASMEND
	;; [unrolled: 5-line block ×16, first 2 shown]
	ds_read_b128 v[30:33], v109 offset:30720
	;;#ASMSTART
	
             v_fmac_f32 v56, v34, v16 
             
	;;#ASMEND
	;;#ASMSTART
	
             v_fmac_f32 v57, v34, v17 
             
	;;#ASMEND
	;; [unrolled: 5-line block ×16, first 2 shown]
	ds_read_b128 v[16:19], v109 offset:30976
	ds_read_b128 v[34:37], v108 offset:14592
	s_waitcnt lgkmcnt(2)
	;;#ASMSTART
	
             v_fmac_f32 v104, v26, v30 
             
	;;#ASMEND
	;;#ASMSTART
	
             v_fmac_f32 v105, v26, v31 
             
	;;#ASMEND
	;; [unrolled: 5-line block ×16, first 2 shown]
	s_waitcnt lgkmcnt(1)
	;;#ASMSTART
	
             v_fmac_f32 v92, v26, v16 
             
	;;#ASMEND
	;;#ASMSTART
	
             v_fmac_f32 v93, v26, v17 
             
	;;#ASMEND
	;; [unrolled: 5-line block ×16, first 2 shown]
	ds_read_b128 v[26:29], v108 offset:14848
	s_waitcnt lgkmcnt(1)
	;;#ASMSTART
	
             v_fmac_f32 v60, v34, v30 
             
	;;#ASMEND
	;;#ASMSTART
	
             v_fmac_f32 v61, v34, v31 
             
	;;#ASMEND
	;; [unrolled: 5-line block ×16, first 2 shown]
	ds_read_b128 v[30:33], v109 offset:31232
	;;#ASMSTART
	
             v_fmac_f32 v56, v34, v16 
             
	;;#ASMEND
	;;#ASMSTART
	
             v_fmac_f32 v57, v34, v17 
             
	;;#ASMEND
	;; [unrolled: 5-line block ×16, first 2 shown]
	ds_read_b128 v[16:19], v109 offset:31488
	ds_read_b128 v[34:37], v108 offset:15104
	s_waitcnt lgkmcnt(2)
	;;#ASMSTART
	
             v_fmac_f32 v104, v26, v30 
             
	;;#ASMEND
	;;#ASMSTART
	
             v_fmac_f32 v105, v26, v31 
             
	;;#ASMEND
	;;#ASMSTART
	
             v_fmac_f32 v94, v26, v32 
             
	;;#ASMEND
	;;#ASMSTART
	
             v_fmac_f32 v95, v26, v33 
             
	;;#ASMEND
	;;#ASMSTART
	
             v_fmac_f32 v88, v27, v30 
             
	;;#ASMEND
	;;#ASMSTART
	
             v_fmac_f32 v89, v27, v31 
             
	;;#ASMEND
	;;#ASMSTART
	
             v_fmac_f32 v78, v27, v32 
             
	;;#ASMEND
	;;#ASMSTART
	
             v_fmac_f32 v79, v27, v33 
             
	;;#ASMEND
	;;#ASMSTART
	
             v_fmac_f32 v76, v28, v30 
             
	;;#ASMEND
	;;#ASMSTART
	
             v_fmac_f32 v77, v28, v31 
             
	;;#ASMEND
	;;#ASMSTART
	
             v_fmac_f32 v74, v28, v32 
             
	;;#ASMEND
	;;#ASMSTART
	
             v_fmac_f32 v75, v28, v33 
             
	;;#ASMEND
	;;#ASMSTART
	
             v_fmac_f32 v72, v29, v30 
             
	;;#ASMEND
	;;#ASMSTART
	
             v_fmac_f32 v73, v29, v31 
             
	;;#ASMEND
	;;#ASMSTART
	
             v_fmac_f32 v62, v29, v32 
             
	;;#ASMEND
	;;#ASMSTART
	
             v_fmac_f32 v63, v29, v33 
             
	;;#ASMEND
	s_waitcnt lgkmcnt(1)
	;;#ASMSTART
	
             v_fmac_f32 v92, v26, v16 
             
	;;#ASMEND
	;;#ASMSTART
	
             v_fmac_f32 v93, v26, v17 
             
	;;#ASMEND
	;; [unrolled: 5-line block ×16, first 2 shown]
	ds_read_b128 v[26:29], v108 offset:15360
	s_waitcnt lgkmcnt(1)
	;;#ASMSTART
	
             v_fmac_f32 v60, v34, v30 
             
	;;#ASMEND
	;;#ASMSTART
	
             v_fmac_f32 v61, v34, v31 
             
	;;#ASMEND
	;; [unrolled: 5-line block ×16, first 2 shown]
	ds_read_b128 v[30:33], v109 offset:31744
	;;#ASMSTART
	
             v_fmac_f32 v56, v34, v16 
             
	;;#ASMEND
	;;#ASMSTART
	
             v_fmac_f32 v57, v34, v17 
             
	;;#ASMEND
	;; [unrolled: 5-line block ×16, first 2 shown]
	ds_read_b128 v[16:19], v109 offset:32000
	ds_read_b128 v[48:51], v108 offset:15616
	s_waitcnt lgkmcnt(2)
	;;#ASMSTART
	
             v_fmac_f32 v104, v26, v30 
             
	;;#ASMEND
	;;#ASMSTART
	
             v_fmac_f32 v105, v26, v31 
             
	;;#ASMEND
	;; [unrolled: 5-line block ×16, first 2 shown]
	s_waitcnt lgkmcnt(1)
	;;#ASMSTART
	
             v_fmac_f32 v92, v26, v16 
             
	;;#ASMEND
	;;#ASMSTART
	
             v_fmac_f32 v93, v26, v17 
             
	;;#ASMEND
	;; [unrolled: 5-line block ×16, first 2 shown]
	ds_read_b128 v[34:37], v108 offset:15872
	s_waitcnt lgkmcnt(1)
	;;#ASMSTART
	
             v_fmac_f32 v60, v48, v30 
             
	;;#ASMEND
	;;#ASMSTART
	
             v_fmac_f32 v61, v48, v31 
             
	;;#ASMEND
	;; [unrolled: 5-line block ×16, first 2 shown]
	ds_read_b128 v[30:33], v109 offset:32256
	;;#ASMSTART
	
             v_fmac_f32 v56, v48, v16 
             
	;;#ASMEND
	;;#ASMSTART
	
             v_fmac_f32 v57, v48, v17 
             
	;;#ASMEND
	;; [unrolled: 5-line block ×16, first 2 shown]
	ds_read_b128 v[16:19], v109 offset:32512
	ds_read_b128 v[26:29], v108 offset:16128
	s_waitcnt lgkmcnt(2)
	;;#ASMSTART
	
             v_fmac_f32 v104, v34, v30 
             
	;;#ASMEND
	;;#ASMSTART
	
             v_fmac_f32 v105, v34, v31 
             
	;;#ASMEND
	;; [unrolled: 5-line block ×16, first 2 shown]
	s_waitcnt lgkmcnt(1)
	;;#ASMSTART
	
             v_fmac_f32 v92, v34, v16 
             
	;;#ASMEND
	;;#ASMSTART
	
             v_fmac_f32 v93, v34, v17 
             
	;;#ASMEND
	;; [unrolled: 5-line block ×16, first 2 shown]
	s_waitcnt lgkmcnt(0)
	;;#ASMSTART
	
             v_fmac_f32 v60, v26, v30 
             
	;;#ASMEND
	;;#ASMSTART
	
             v_fmac_f32 v61, v26, v31 
             
	;;#ASMEND
	;; [unrolled: 5-line block ×30, first 2 shown]
	v_accvgpr_read_b32 v16, a7
	v_accvgpr_read_b32 v17, a16
	;;#ASMSTART
	
             v_fmac_f32 v40, v29, v18 
             
	;;#ASMEND
	;;#ASMSTART
	
             v_fmac_f32 v41, v29, v19 
             
	;;#ASMEND
	ds_write2st64_b32 v16, v120, v17 offset1:2
	v_accvgpr_read_b32 v17, a14
	v_accvgpr_read_b32 v18, a15
	ds_write2st64_b32 v16, v18, v17 offset0:4 offset1:6
	ds_write2st64_b32 v16, v122, v121 offset0:8 offset1:10
	;; [unrolled: 1-line block ×3, first 2 shown]
	ds_write_b32 v16, v127 offset:16384
	s_add_i32 s26, s26, 32
	v_accvgpr_read_b32 v16, a12
	v_cmp_ge_i32_e32 vcc, s26, v16
	v_accvgpr_read_b32 v17, a13
	s_or_b64 s[16:17], vcc, s[16:17]
	ds_write2st64_b32 v17, v126, v125 offset0:2 offset1:4
	ds_write2st64_b32 v17, v123, v54 offset0:6 offset1:8
	;; [unrolled: 1-line block ×3, first 2 shown]
	ds_write_b32 v17, v124 offset:3584
	s_andn2_b64 exec, exec, s[16:17]
	s_cbranch_execnz .LBB13_9
; %bb.26:
	s_or_b64 exec, exec, s[16:17]
	flat_load_dword v33, v[8:9] offset:276
	flat_load_dwordx3 v[30:32], v[8:9] offset:228
	flat_load_dwordx3 v[120:122], v[8:9] offset:212
	;; [unrolled: 1-line block ×3, first 2 shown]
	flat_load_dword v34, v[8:9] offset:128
	flat_load_dword v35, v[8:9] offset:112
	;; [unrolled: 1-line block ×3, first 2 shown]
	flat_load_dwordx4 v[50:53], v[8:9] offset:24
	flat_load_dword v38, v[10:11] offset:48
	s_waitcnt lgkmcnt(0)
	s_barrier
	flat_load_dword v48, v[8:9] offset:248
	flat_load_dword v49, v[8:9] offset:76
	flat_load_dwordx4 v[16:19], v[8:9] offset:60
	flat_load_dwordx4 v[26:29], v[8:9] offset:44
	flat_load_dword v37, v[8:9] offset:260
	s_waitcnt vmcnt(0)
	v_mul_lo_u32 v54, v33, 12
	v_accvgpr_read_b32 v33, a11
	s_waitcnt lgkmcnt(0)
	v_cmp_lt_i32_e32 vcc, v33, v48
	v_add_u32_e32 v48, v54, v12
	v_mul_hi_u32 v12, v48, v122
	v_add_u32_e32 v12, v48, v12
	v_lshrrev_b32_e32 v12, v32, v12
	v_sub_u32_e32 v33, v26, v28
	v_mul_hi_u32 v26, v12, v121
	v_add_u32_e32 v26, v12, v26
	v_sub_u32_e32 v17, v29, v17
	v_lshrrev_b32_e32 v29, v31, v26
	v_mul_lo_u32 v26, v29, v125
	v_mul_hi_u32 v31, v29, v120
	v_sub_u32_e32 v110, v18, v49
	v_mul_lo_u32 v18, v12, v126
	v_sub_u32_e32 v26, v12, v26
	v_add_u32_e32 v12, v29, v31
	v_lshrrev_b32_e32 v12, v30, v12
	v_sub_u32_e32 v18, v48, v18
	v_sub_u32_e32 v31, v26, v106
	v_mul_lo_u32 v30, v12, v124
	v_sub_u32_e32 v28, v18, v39
	v_sub_u32_e32 v39, v12, v14
	v_mul_lo_u32 v31, v31, v34
	v_sub_u32_e32 v32, v29, v30
	v_mul_lo_u32 v28, v53, v28
	v_add_u32_e32 v14, v31, v15
	v_mul_lo_u32 v15, v39, v36
	v_mul_lo_u32 v29, v31, v52
	v_sub_u32_e32 v30, v32, v13
	v_mul_lo_u32 v111, v38, 12
	v_add_u32_e32 v38, v54, v107
	v_add_u32_e32 v13, v15, v0
	v_mul_lo_u32 v0, v15, v50
	v_add3_u32 v15, v28, v55, v29
	v_cmp_le_i32_e64 s[6:7], v19, v14
	v_cmp_gt_i32_e64 s[8:9], v110, v14
	v_mul_lo_u32 v28, v30, v35
	v_cmp_lt_i32_e64 s[4:5], v38, v37
	s_and_b64 s[10:11], s[6:7], s[8:9]
	v_cmp_le_i32_e64 s[6:7], v27, v13
	v_cmp_gt_i32_e64 s[8:9], v33, v13
	v_add_u32_e32 v1, v28, v1
	s_and_b64 s[10:11], s[4:5], s[10:11]
	s_and_b64 s[8:9], s[6:7], s[8:9]
	v_cmp_le_i32_e64 s[4:5], v16, v1
	v_cmp_gt_i32_e64 s[6:7], v17, v1
	s_and_b64 s[4:5], s[4:5], s[6:7]
	v_mul_lo_u32 v28, v28, v51
	s_and_b64 s[4:5], s[10:11], s[4:5]
	v_add3_u32 v0, v15, v0, v28
	s_and_b64 s[4:5], s[4:5], s[8:9]
	v_add_u32_e32 v49, v111, v116
	v_add_u32_e32 v54, v111, v117
	v_lshlrev_b32_e32 v15, 2, v0
	s_and_b64 s[4:5], vcc, s[4:5]
	s_mov_b64 s[10:11], exec
.LBB13_27:                              ; =>This Inner Loop Header: Depth=1
	v_readfirstlane_b32 s12, v22
	v_readfirstlane_b32 s13, v23
	;; [unrolled: 1-line block ×4, first 2 shown]
	v_cmp_eq_u64_e64 s[6:7], s[12:13], v[22:23]
	v_cmp_eq_u64_e64 s[8:9], s[14:15], v[24:25]
	s_and_b64 s[6:7], s[6:7], s[8:9]
	s_and_saveexec_b64 s[6:7], s[6:7]
	s_nop 0
	buffer_load_dwordx4 v[28:31], v15, s[12:15], 0 offen
                                        ; implicit-def: $vgpr15
	s_xor_b64 exec, exec, s[6:7]
	s_cbranch_execnz .LBB13_27
; %bb.28:
	s_mov_b64 exec, s[10:11]
	flat_load_dword v15, v[8:9] offset:276
	flat_load_dwordx3 v[120:122], v[8:9] offset:212
	flat_load_dwordx3 v[124:126], v[8:9] offset:228
	flat_load_dwordx3 v[34:36], v[8:9] offset:196
	flat_load_dwordx4 v[50:53], v[8:9] offset:24
	flat_load_dword v39, v[8:9] offset:128
	flat_load_dword v55, v[8:9] offset:96
	;; [unrolled: 1-line block ×3, first 2 shown]
	s_waitcnt vmcnt(0)
	v_cndmask_b32_e64 v31, 0, v31, s[4:5]
	v_cndmask_b32_e64 v30, 0, v30, s[4:5]
	;; [unrolled: 1-line block ×4, first 2 shown]
	s_waitcnt lgkmcnt(0)
	v_lshlrev_b32_e32 v8, 2, v15
	v_add_u32_e32 v15, v8, v48
	v_add_u32_e32 v9, v8, v38
	v_mul_hi_u32 v8, v15, v122
	v_add_u32_e32 v8, v15, v8
	v_lshrrev_b32_e32 v38, v126, v8
	v_cmp_lt_i32_e64 s[4:5], v9, v37
	v_mad_u64_u32 v[8:9], s[6:7], v38, v36, v[18:19]
	v_mul_hi_u32 v9, v38, v121
	v_add_u32_e32 v9, v38, v9
	v_sub_u32_e32 v8, v15, v8
	v_lshrrev_b32_e32 v15, v125, v9
	v_mad_u64_u32 v[8:9], s[6:7], v53, v8, v[0:1]
	v_mul_hi_u32 v0, v15, v120
	v_mad_u64_u32 v[36:37], s[6:7], v15, v35, v[26:27]
	v_add_u32_e32 v0, v15, v0
	v_sub_u32_e32 v9, v38, v36
	v_lshrrev_b32_e32 v0, v124, v0
	v_mul_lo_u32 v9, v9, v39
	v_mad_u64_u32 v[34:35], s[6:7], v0, v34, v[32:33]
	v_sub_u32_e32 v0, v0, v12
	v_add_u32_e32 v12, v9, v14
	v_sub_u32_e32 v14, v15, v34
	v_mul_lo_u32 v0, v0, v55
	v_cmp_le_i32_e64 s[6:7], v19, v12
	v_cmp_gt_i32_e64 s[8:9], v110, v12
	v_mul_lo_u32 v12, v14, v116
	v_add_u32_e32 v13, v0, v13
	s_and_b64 s[6:7], s[6:7], s[8:9]
	v_add_u32_e32 v1, v12, v1
	s_and_b64 s[12:13], s[4:5], s[6:7]
	v_cmp_le_i32_e64 s[4:5], v27, v13
	v_cmp_gt_i32_e64 s[6:7], v33, v13
	v_cmp_le_i32_e64 s[8:9], v16, v1
	v_cmp_gt_i32_e64 s[10:11], v17, v1
	s_and_b64 s[4:5], s[4:5], s[6:7]
	s_and_b64 s[6:7], s[8:9], s[10:11]
	v_mul_lo_u32 v9, v9, v52
	v_mul_lo_u32 v0, v0, v50
	s_and_b64 s[6:7], s[12:13], s[6:7]
	v_mul_lo_u32 v12, v12, v51
	v_add3_u32 v0, v8, v9, v0
	s_and_b64 s[4:5], s[4:5], s[6:7]
	v_add_lshl_u32 v0, v0, v12, 2
	s_and_b64 vcc, vcc, s[4:5]
	s_mov_b64 s[12:13], exec
.LBB13_29:                              ; =>This Inner Loop Header: Depth=1
	v_readfirstlane_b32 s8, v22
	v_readfirstlane_b32 s9, v23
	;; [unrolled: 1-line block ×4, first 2 shown]
	v_cmp_eq_u64_e64 s[4:5], s[8:9], v[22:23]
	v_cmp_eq_u64_e64 s[6:7], s[10:11], v[24:25]
	s_and_b64 s[4:5], s[4:5], s[6:7]
	s_and_saveexec_b64 s[4:5], s[4:5]
	s_nop 0
	buffer_load_dwordx4 v[16:19], v0, s[8:11], 0 offen
                                        ; implicit-def: $vgpr22_vgpr23_vgpr24_vgpr25
                                        ; implicit-def: $vgpr0
	s_xor_b64 exec, exec, s[4:5]
	s_cbranch_execnz .LBB13_29
; %bb.30:
	s_mov_b64 exec, s[12:13]
	flat_load_dword v0, v[10:11] offset:32
	flat_load_dword v8, v[10:11] offset:20
	v_accvgpr_read_b32 v9, a10
	s_waitcnt vmcnt(0)
	v_cndmask_b32_e32 v12, 0, v19, vcc
	v_cndmask_b32_e32 v13, 0, v18, vcc
	;; [unrolled: 1-line block ×4, first 2 shown]
	v_lshlrev_b32_e32 v1, 2, v54
	s_mov_b64 s[10:11], exec
	s_waitcnt lgkmcnt(0)
	v_cmp_gt_i32_e64 s[4:5], v0, v49
	v_cmp_gt_i32_e32 vcc, v8, v9
	s_and_b64 s[4:5], vcc, s[4:5]
.LBB13_31:                              ; =>This Inner Loop Header: Depth=1
	v_readfirstlane_b32 s12, v2
	v_readfirstlane_b32 s13, v3
	;; [unrolled: 1-line block ×4, first 2 shown]
	v_cmp_eq_u64_e64 s[6:7], s[12:13], v[2:3]
	v_cmp_eq_u64_e64 s[8:9], s[14:15], v[4:5]
	s_and_b64 s[6:7], s[6:7], s[8:9]
	s_and_saveexec_b64 s[6:7], s[6:7]
	s_nop 0
	buffer_load_dwordx4 v[16:19], v1, s[12:15], 0 offen
                                        ; implicit-def: $vgpr1
	s_xor_b64 exec, exec, s[6:7]
	s_cbranch_execnz .LBB13_31
; %bb.32:
	s_mov_b64 exec, s[10:11]
	flat_load_dword v1, v[10:11] offset:48
	s_waitcnt vmcnt(0)
	v_cndmask_b32_e64 v14, 0, v19, s[4:5]
	v_cndmask_b32_e64 v15, 0, v18, s[4:5]
	v_cndmask_b32_e64 v32, 0, v17, s[4:5]
	v_cndmask_b32_e64 v33, 0, v16, s[4:5]
	s_mov_b64 s[12:13], exec
	s_waitcnt lgkmcnt(0)
	v_lshlrev_b32_e32 v1, 2, v1
	v_add_u32_e32 v8, v1, v49
	v_cmp_gt_i32_e64 s[4:5], v0, v8
	v_add_lshl_u32 v1, v1, v54, 2
	s_and_b64 vcc, vcc, s[4:5]
.LBB13_33:                              ; =>This Inner Loop Header: Depth=1
	v_readfirstlane_b32 s8, v2
	v_readfirstlane_b32 s9, v3
	;; [unrolled: 1-line block ×4, first 2 shown]
	v_cmp_eq_u64_e64 s[4:5], s[8:9], v[2:3]
	v_cmp_eq_u64_e64 s[6:7], s[10:11], v[4:5]
	s_and_b64 s[4:5], s[4:5], s[6:7]
	s_and_saveexec_b64 s[4:5], s[4:5]
	s_nop 0
	buffer_load_dwordx4 v[22:25], v1, s[8:11], 0 offen
                                        ; implicit-def: $vgpr2_vgpr3_vgpr4_vgpr5
                                        ; implicit-def: $vgpr1
	s_xor_b64 exec, exec, s[4:5]
	s_cbranch_execnz .LBB13_33
; %bb.34:
	s_mov_b64 exec, s[12:13]
	s_waitcnt vmcnt(0)
	v_cndmask_b32_e32 v4, 0, v25, vcc
	v_cndmask_b32_e32 v5, 0, v24, vcc
	ds_read_b128 v[8:11], v108
	ds_read_b128 v[16:19], v109 offset:16384
	v_cndmask_b32_e32 v34, 0, v23, vcc
	v_cndmask_b32_e32 v35, 0, v22, vcc
	ds_read_b128 v[0:3], v109 offset:16640
	ds_read_b128 v[22:25], v108 offset:256
	s_waitcnt lgkmcnt(2)
	;;#ASMSTART
	
             v_fmac_f32 v104, v8, v16 
             
	;;#ASMEND
	;;#ASMSTART
	
             v_fmac_f32 v105, v8, v17 
             
	;;#ASMEND
	;; [unrolled: 5-line block ×16, first 2 shown]
	s_waitcnt lgkmcnt(1)
	;;#ASMSTART
	
             v_fmac_f32 v92, v8, v0 
             
	;;#ASMEND
	;;#ASMSTART
	
             v_fmac_f32 v93, v8, v1 
             
	;;#ASMEND
	;; [unrolled: 5-line block ×16, first 2 shown]
	ds_read_b128 v[8:11], v108 offset:512
	s_waitcnt lgkmcnt(1)
	;;#ASMSTART
	
             v_fmac_f32 v60, v22, v16 
             
	;;#ASMEND
	;;#ASMSTART
	
             v_fmac_f32 v61, v22, v17 
             
	;;#ASMEND
	;; [unrolled: 5-line block ×16, first 2 shown]
	ds_read_b128 v[16:19], v109 offset:16896
	;;#ASMSTART
	
             v_fmac_f32 v56, v22, v0 
             
	;;#ASMEND
	;;#ASMSTART
	
             v_fmac_f32 v57, v22, v1 
             
	;;#ASMEND
	;;#ASMSTART
	
             v_fmac_f32 v46, v22, v2 
             
	;;#ASMEND
	;;#ASMSTART
	
             v_fmac_f32 v47, v22, v3 
             
	;;#ASMEND
	;;#ASMSTART
	
             v_fmac_f32 v86, v23, v0 
             
	;;#ASMEND
	;;#ASMSTART
	
             v_fmac_f32 v87, v23, v1 
             
	;;#ASMEND
	;;#ASMSTART
	
             v_fmac_f32 v84, v23, v2 
             
	;;#ASMEND
	;;#ASMSTART
	
             v_fmac_f32 v85, v23, v3 
             
	;;#ASMEND
	;;#ASMSTART
	
             v_fmac_f32 v102, v24, v0 
             
	;;#ASMEND
	;;#ASMSTART
	
             v_fmac_f32 v103, v24, v1 
             
	;;#ASMEND
	;;#ASMSTART
	
             v_fmac_f32 v100, v24, v2 
             
	;;#ASMEND
	;;#ASMSTART
	
             v_fmac_f32 v101, v24, v3 
             
	;;#ASMEND
	;;#ASMSTART
	
             v_fmac_f32 v118, v25, v0 
             
	;;#ASMEND
	;;#ASMSTART
	
             v_fmac_f32 v119, v25, v1 
             
	;;#ASMEND
	;;#ASMSTART
	
             v_fmac_f32 v40, v25, v2 
             
	;;#ASMEND
	;;#ASMSTART
	
             v_fmac_f32 v41, v25, v3 
             
	;;#ASMEND
	ds_read_b128 v[0:3], v109 offset:17152
	ds_read_b128 v[22:25], v108 offset:768
	s_waitcnt lgkmcnt(2)
	;;#ASMSTART
	
             v_fmac_f32 v104, v8, v16 
             
	;;#ASMEND
	;;#ASMSTART
	
             v_fmac_f32 v105, v8, v17 
             
	;;#ASMEND
	;; [unrolled: 5-line block ×16, first 2 shown]
	s_waitcnt lgkmcnt(1)
	;;#ASMSTART
	
             v_fmac_f32 v92, v8, v0 
             
	;;#ASMEND
	;;#ASMSTART
	
             v_fmac_f32 v93, v8, v1 
             
	;;#ASMEND
	;; [unrolled: 5-line block ×16, first 2 shown]
	ds_read_b128 v[8:11], v108 offset:1024
	s_waitcnt lgkmcnt(1)
	;;#ASMSTART
	
             v_fmac_f32 v60, v22, v16 
             
	;;#ASMEND
	;;#ASMSTART
	
             v_fmac_f32 v61, v22, v17 
             
	;;#ASMEND
	;; [unrolled: 5-line block ×16, first 2 shown]
	ds_read_b128 v[16:19], v109 offset:17408
	;;#ASMSTART
	
             v_fmac_f32 v56, v22, v0 
             
	;;#ASMEND
	;;#ASMSTART
	
             v_fmac_f32 v57, v22, v1 
             
	;;#ASMEND
	;; [unrolled: 5-line block ×16, first 2 shown]
	ds_read_b128 v[0:3], v109 offset:17664
	ds_read_b128 v[22:25], v108 offset:1280
	s_waitcnt lgkmcnt(2)
	;;#ASMSTART
	
             v_fmac_f32 v104, v8, v16 
             
	;;#ASMEND
	;;#ASMSTART
	
             v_fmac_f32 v105, v8, v17 
             
	;;#ASMEND
	;; [unrolled: 5-line block ×16, first 2 shown]
	s_waitcnt lgkmcnt(1)
	;;#ASMSTART
	
             v_fmac_f32 v92, v8, v0 
             
	;;#ASMEND
	;;#ASMSTART
	
             v_fmac_f32 v93, v8, v1 
             
	;;#ASMEND
	;;#ASMSTART
	
             v_fmac_f32 v90, v8, v2 
             
	;;#ASMEND
	;;#ASMSTART
	
             v_fmac_f32 v91, v8, v3 
             
	;;#ASMEND
	;;#ASMSTART
	
             v_fmac_f32 v70, v9, v0 
             
	;;#ASMEND
	;;#ASMSTART
	
             v_fmac_f32 v71, v9, v1 
             
	;;#ASMEND
	;;#ASMSTART
	
             v_fmac_f32 v68, v9, v2 
             
	;;#ASMEND
	;;#ASMSTART
	
             v_fmac_f32 v69, v9, v3 
             
	;;#ASMEND
	;;#ASMSTART
	
             v_fmac_f32 v66, v10, v0 
             
	;;#ASMEND
	;;#ASMSTART
	
             v_fmac_f32 v67, v10, v1 
             
	;;#ASMEND
	;;#ASMSTART
	
             v_fmac_f32 v64, v10, v2 
             
	;;#ASMEND
	;;#ASMSTART
	
             v_fmac_f32 v65, v10, v3 
             
	;;#ASMEND
	;;#ASMSTART
	
             v_fmac_f32 v82, v11, v0 
             
	;;#ASMEND
	;;#ASMSTART
	
             v_fmac_f32 v83, v11, v1 
             
	;;#ASMEND
	;;#ASMSTART
	
             v_fmac_f32 v80, v11, v2 
             
	;;#ASMEND
	;;#ASMSTART
	
             v_fmac_f32 v81, v11, v3 
             
	;;#ASMEND
	ds_read_b128 v[8:11], v108 offset:1536
	s_waitcnt lgkmcnt(1)
	;;#ASMSTART
	
             v_fmac_f32 v60, v22, v16 
             
	;;#ASMEND
	;;#ASMSTART
	
             v_fmac_f32 v61, v22, v17 
             
	;;#ASMEND
	;; [unrolled: 5-line block ×16, first 2 shown]
	ds_read_b128 v[16:19], v109 offset:17920
	;;#ASMSTART
	
             v_fmac_f32 v56, v22, v0 
             
	;;#ASMEND
	;;#ASMSTART
	
             v_fmac_f32 v57, v22, v1 
             
	;;#ASMEND
	;; [unrolled: 5-line block ×16, first 2 shown]
	ds_read_b128 v[0:3], v109 offset:18176
	ds_read_b128 v[22:25], v108 offset:1792
	s_waitcnt lgkmcnt(2)
	;;#ASMSTART
	
             v_fmac_f32 v104, v8, v16 
             
	;;#ASMEND
	;;#ASMSTART
	
             v_fmac_f32 v105, v8, v17 
             
	;;#ASMEND
	;; [unrolled: 5-line block ×16, first 2 shown]
	s_waitcnt lgkmcnt(1)
	;;#ASMSTART
	
             v_fmac_f32 v92, v8, v0 
             
	;;#ASMEND
	;;#ASMSTART
	
             v_fmac_f32 v93, v8, v1 
             
	;;#ASMEND
	;; [unrolled: 5-line block ×16, first 2 shown]
	ds_read_b128 v[8:11], v108 offset:2048
	s_waitcnt lgkmcnt(1)
	;;#ASMSTART
	
             v_fmac_f32 v60, v22, v16 
             
	;;#ASMEND
	;;#ASMSTART
	
             v_fmac_f32 v61, v22, v17 
             
	;;#ASMEND
	;; [unrolled: 5-line block ×16, first 2 shown]
	ds_read_b128 v[16:19], v109 offset:18432
	;;#ASMSTART
	
             v_fmac_f32 v56, v22, v0 
             
	;;#ASMEND
	;;#ASMSTART
	
             v_fmac_f32 v57, v22, v1 
             
	;;#ASMEND
	;; [unrolled: 5-line block ×16, first 2 shown]
	ds_read_b128 v[0:3], v109 offset:18688
	ds_read_b128 v[22:25], v108 offset:2304
	s_waitcnt lgkmcnt(2)
	;;#ASMSTART
	
             v_fmac_f32 v104, v8, v16 
             
	;;#ASMEND
	;;#ASMSTART
	
             v_fmac_f32 v105, v8, v17 
             
	;;#ASMEND
	;; [unrolled: 5-line block ×16, first 2 shown]
	s_waitcnt lgkmcnt(1)
	;;#ASMSTART
	
             v_fmac_f32 v92, v8, v0 
             
	;;#ASMEND
	;;#ASMSTART
	
             v_fmac_f32 v93, v8, v1 
             
	;;#ASMEND
	;;#ASMSTART
	
             v_fmac_f32 v90, v8, v2 
             
	;;#ASMEND
	;;#ASMSTART
	
             v_fmac_f32 v91, v8, v3 
             
	;;#ASMEND
	;;#ASMSTART
	
             v_fmac_f32 v70, v9, v0 
             
	;;#ASMEND
	;;#ASMSTART
	
             v_fmac_f32 v71, v9, v1 
             
	;;#ASMEND
	;;#ASMSTART
	
             v_fmac_f32 v68, v9, v2 
             
	;;#ASMEND
	;;#ASMSTART
	
             v_fmac_f32 v69, v9, v3 
             
	;;#ASMEND
	;;#ASMSTART
	
             v_fmac_f32 v66, v10, v0 
             
	;;#ASMEND
	;;#ASMSTART
	
             v_fmac_f32 v67, v10, v1 
             
	;;#ASMEND
	;;#ASMSTART
	
             v_fmac_f32 v64, v10, v2 
             
	;;#ASMEND
	;;#ASMSTART
	
             v_fmac_f32 v65, v10, v3 
             
	;;#ASMEND
	;;#ASMSTART
	
             v_fmac_f32 v82, v11, v0 
             
	;;#ASMEND
	;;#ASMSTART
	
             v_fmac_f32 v83, v11, v1 
             
	;;#ASMEND
	;;#ASMSTART
	
             v_fmac_f32 v80, v11, v2 
             
	;;#ASMEND
	;;#ASMSTART
	
             v_fmac_f32 v81, v11, v3 
             
	;;#ASMEND
	ds_read_b128 v[8:11], v108 offset:2560
	s_waitcnt lgkmcnt(1)
	;;#ASMSTART
	
             v_fmac_f32 v60, v22, v16 
             
	;;#ASMEND
	;;#ASMSTART
	
             v_fmac_f32 v61, v22, v17 
             
	;;#ASMEND
	;; [unrolled: 5-line block ×16, first 2 shown]
	ds_read_b128 v[16:19], v109 offset:18944
	;;#ASMSTART
	
             v_fmac_f32 v56, v22, v0 
             
	;;#ASMEND
	;;#ASMSTART
	
             v_fmac_f32 v57, v22, v1 
             
	;;#ASMEND
	;; [unrolled: 5-line block ×16, first 2 shown]
	ds_read_b128 v[0:3], v109 offset:19200
	ds_read_b128 v[22:25], v108 offset:2816
	s_waitcnt lgkmcnt(2)
	;;#ASMSTART
	
             v_fmac_f32 v104, v8, v16 
             
	;;#ASMEND
	;;#ASMSTART
	
             v_fmac_f32 v105, v8, v17 
             
	;;#ASMEND
	;;#ASMSTART
	
             v_fmac_f32 v94, v8, v18 
             
	;;#ASMEND
	;;#ASMSTART
	
             v_fmac_f32 v95, v8, v19 
             
	;;#ASMEND
	;;#ASMSTART
	
             v_fmac_f32 v88, v9, v16 
             
	;;#ASMEND
	;;#ASMSTART
	
             v_fmac_f32 v89, v9, v17 
             
	;;#ASMEND
	;;#ASMSTART
	
             v_fmac_f32 v78, v9, v18 
             
	;;#ASMEND
	;;#ASMSTART
	
             v_fmac_f32 v79, v9, v19 
             
	;;#ASMEND
	;;#ASMSTART
	
             v_fmac_f32 v76, v10, v16 
             
	;;#ASMEND
	;;#ASMSTART
	
             v_fmac_f32 v77, v10, v17 
             
	;;#ASMEND
	;;#ASMSTART
	
             v_fmac_f32 v74, v10, v18 
             
	;;#ASMEND
	;;#ASMSTART
	
             v_fmac_f32 v75, v10, v19 
             
	;;#ASMEND
	;;#ASMSTART
	
             v_fmac_f32 v72, v11, v16 
             
	;;#ASMEND
	;;#ASMSTART
	
             v_fmac_f32 v73, v11, v17 
             
	;;#ASMEND
	;;#ASMSTART
	
             v_fmac_f32 v62, v11, v18 
             
	;;#ASMEND
	;;#ASMSTART
	
             v_fmac_f32 v63, v11, v19 
             
	;;#ASMEND
	s_waitcnt lgkmcnt(1)
	;;#ASMSTART
	
             v_fmac_f32 v92, v8, v0 
             
	;;#ASMEND
	;;#ASMSTART
	
             v_fmac_f32 v93, v8, v1 
             
	;;#ASMEND
	;; [unrolled: 5-line block ×16, first 2 shown]
	ds_read_b128 v[8:11], v108 offset:3072
	s_waitcnt lgkmcnt(1)
	;;#ASMSTART
	
             v_fmac_f32 v60, v22, v16 
             
	;;#ASMEND
	;;#ASMSTART
	
             v_fmac_f32 v61, v22, v17 
             
	;;#ASMEND
	;; [unrolled: 5-line block ×16, first 2 shown]
	ds_read_b128 v[16:19], v109 offset:19456
	;;#ASMSTART
	
             v_fmac_f32 v56, v22, v0 
             
	;;#ASMEND
	;;#ASMSTART
	
             v_fmac_f32 v57, v22, v1 
             
	;;#ASMEND
	;; [unrolled: 5-line block ×16, first 2 shown]
	ds_read_b128 v[0:3], v109 offset:19712
	ds_read_b128 v[22:25], v108 offset:3328
	s_waitcnt lgkmcnt(2)
	;;#ASMSTART
	
             v_fmac_f32 v104, v8, v16 
             
	;;#ASMEND
	;;#ASMSTART
	
             v_fmac_f32 v105, v8, v17 
             
	;;#ASMEND
	;; [unrolled: 5-line block ×16, first 2 shown]
	s_waitcnt lgkmcnt(1)
	;;#ASMSTART
	
             v_fmac_f32 v92, v8, v0 
             
	;;#ASMEND
	;;#ASMSTART
	
             v_fmac_f32 v93, v8, v1 
             
	;;#ASMEND
	;; [unrolled: 5-line block ×16, first 2 shown]
	ds_read_b128 v[8:11], v108 offset:3584
	s_waitcnt lgkmcnt(1)
	;;#ASMSTART
	
             v_fmac_f32 v60, v22, v16 
             
	;;#ASMEND
	;;#ASMSTART
	
             v_fmac_f32 v61, v22, v17 
             
	;;#ASMEND
	;; [unrolled: 5-line block ×16, first 2 shown]
	ds_read_b128 v[16:19], v109 offset:19968
	;;#ASMSTART
	
             v_fmac_f32 v56, v22, v0 
             
	;;#ASMEND
	;;#ASMSTART
	
             v_fmac_f32 v57, v22, v1 
             
	;;#ASMEND
	;; [unrolled: 5-line block ×16, first 2 shown]
	ds_read_b128 v[0:3], v109 offset:20224
	ds_read_b128 v[22:25], v108 offset:3840
	s_waitcnt lgkmcnt(2)
	;;#ASMSTART
	
             v_fmac_f32 v104, v8, v16 
             
	;;#ASMEND
	;;#ASMSTART
	
             v_fmac_f32 v105, v8, v17 
             
	;;#ASMEND
	;; [unrolled: 5-line block ×16, first 2 shown]
	s_waitcnt lgkmcnt(1)
	;;#ASMSTART
	
             v_fmac_f32 v92, v8, v0 
             
	;;#ASMEND
	;;#ASMSTART
	
             v_fmac_f32 v93, v8, v1 
             
	;;#ASMEND
	;; [unrolled: 5-line block ×16, first 2 shown]
	ds_read_b128 v[8:11], v108 offset:4096
	s_waitcnt lgkmcnt(1)
	;;#ASMSTART
	
             v_fmac_f32 v60, v22, v16 
             
	;;#ASMEND
	;;#ASMSTART
	
             v_fmac_f32 v61, v22, v17 
             
	;;#ASMEND
	;; [unrolled: 5-line block ×16, first 2 shown]
	ds_read_b128 v[16:19], v109 offset:20480
	;;#ASMSTART
	
             v_fmac_f32 v56, v22, v0 
             
	;;#ASMEND
	;;#ASMSTART
	
             v_fmac_f32 v57, v22, v1 
             
	;;#ASMEND
	;; [unrolled: 5-line block ×16, first 2 shown]
	ds_read_b128 v[0:3], v109 offset:20736
	ds_read_b128 v[22:25], v108 offset:4352
	s_waitcnt lgkmcnt(2)
	;;#ASMSTART
	
             v_fmac_f32 v104, v8, v16 
             
	;;#ASMEND
	;;#ASMSTART
	
             v_fmac_f32 v105, v8, v17 
             
	;;#ASMEND
	;; [unrolled: 5-line block ×16, first 2 shown]
	s_waitcnt lgkmcnt(1)
	;;#ASMSTART
	
             v_fmac_f32 v92, v8, v0 
             
	;;#ASMEND
	;;#ASMSTART
	
             v_fmac_f32 v93, v8, v1 
             
	;;#ASMEND
	;; [unrolled: 5-line block ×16, first 2 shown]
	ds_read_b128 v[8:11], v108 offset:4608
	s_waitcnt lgkmcnt(1)
	;;#ASMSTART
	
             v_fmac_f32 v60, v22, v16 
             
	;;#ASMEND
	;;#ASMSTART
	
             v_fmac_f32 v61, v22, v17 
             
	;;#ASMEND
	;; [unrolled: 5-line block ×16, first 2 shown]
	ds_read_b128 v[16:19], v109 offset:20992
	;;#ASMSTART
	
             v_fmac_f32 v56, v22, v0 
             
	;;#ASMEND
	;;#ASMSTART
	
             v_fmac_f32 v57, v22, v1 
             
	;;#ASMEND
	;; [unrolled: 5-line block ×16, first 2 shown]
	ds_read_b128 v[0:3], v109 offset:21248
	ds_read_b128 v[22:25], v108 offset:4864
	s_waitcnt lgkmcnt(2)
	;;#ASMSTART
	
             v_fmac_f32 v104, v8, v16 
             
	;;#ASMEND
	;;#ASMSTART
	
             v_fmac_f32 v105, v8, v17 
             
	;;#ASMEND
	;; [unrolled: 5-line block ×16, first 2 shown]
	s_waitcnt lgkmcnt(1)
	;;#ASMSTART
	
             v_fmac_f32 v92, v8, v0 
             
	;;#ASMEND
	;;#ASMSTART
	
             v_fmac_f32 v93, v8, v1 
             
	;;#ASMEND
	;; [unrolled: 5-line block ×16, first 2 shown]
	ds_read_b128 v[8:11], v108 offset:5120
	s_waitcnt lgkmcnt(1)
	;;#ASMSTART
	
             v_fmac_f32 v60, v22, v16 
             
	;;#ASMEND
	;;#ASMSTART
	
             v_fmac_f32 v61, v22, v17 
             
	;;#ASMEND
	;; [unrolled: 5-line block ×16, first 2 shown]
	ds_read_b128 v[16:19], v109 offset:21504
	;;#ASMSTART
	
             v_fmac_f32 v56, v22, v0 
             
	;;#ASMEND
	;;#ASMSTART
	
             v_fmac_f32 v57, v22, v1 
             
	;;#ASMEND
	;; [unrolled: 5-line block ×16, first 2 shown]
	ds_read_b128 v[0:3], v109 offset:21760
	ds_read_b128 v[22:25], v108 offset:5376
	s_waitcnt lgkmcnt(2)
	;;#ASMSTART
	
             v_fmac_f32 v104, v8, v16 
             
	;;#ASMEND
	;;#ASMSTART
	
             v_fmac_f32 v105, v8, v17 
             
	;;#ASMEND
	;; [unrolled: 5-line block ×16, first 2 shown]
	s_waitcnt lgkmcnt(1)
	;;#ASMSTART
	
             v_fmac_f32 v92, v8, v0 
             
	;;#ASMEND
	;;#ASMSTART
	
             v_fmac_f32 v93, v8, v1 
             
	;;#ASMEND
	;; [unrolled: 5-line block ×16, first 2 shown]
	ds_read_b128 v[8:11], v108 offset:5632
	s_waitcnt lgkmcnt(1)
	;;#ASMSTART
	
             v_fmac_f32 v60, v22, v16 
             
	;;#ASMEND
	;;#ASMSTART
	
             v_fmac_f32 v61, v22, v17 
             
	;;#ASMEND
	;; [unrolled: 5-line block ×16, first 2 shown]
	ds_read_b128 v[16:19], v109 offset:22016
	;;#ASMSTART
	
             v_fmac_f32 v56, v22, v0 
             
	;;#ASMEND
	;;#ASMSTART
	
             v_fmac_f32 v57, v22, v1 
             
	;;#ASMEND
	;; [unrolled: 5-line block ×16, first 2 shown]
	ds_read_b128 v[0:3], v109 offset:22272
	ds_read_b128 v[22:25], v108 offset:5888
	s_waitcnt lgkmcnt(2)
	;;#ASMSTART
	
             v_fmac_f32 v104, v8, v16 
             
	;;#ASMEND
	;;#ASMSTART
	
             v_fmac_f32 v105, v8, v17 
             
	;;#ASMEND
	;; [unrolled: 5-line block ×16, first 2 shown]
	s_waitcnt lgkmcnt(1)
	;;#ASMSTART
	
             v_fmac_f32 v92, v8, v0 
             
	;;#ASMEND
	;;#ASMSTART
	
             v_fmac_f32 v93, v8, v1 
             
	;;#ASMEND
	;; [unrolled: 5-line block ×16, first 2 shown]
	ds_read_b128 v[8:11], v108 offset:6144
	s_waitcnt lgkmcnt(1)
	;;#ASMSTART
	
             v_fmac_f32 v60, v22, v16 
             
	;;#ASMEND
	;;#ASMSTART
	
             v_fmac_f32 v61, v22, v17 
             
	;;#ASMEND
	;; [unrolled: 5-line block ×16, first 2 shown]
	ds_read_b128 v[16:19], v109 offset:22528
	;;#ASMSTART
	
             v_fmac_f32 v56, v22, v0 
             
	;;#ASMEND
	;;#ASMSTART
	
             v_fmac_f32 v57, v22, v1 
             
	;;#ASMEND
	;; [unrolled: 5-line block ×16, first 2 shown]
	ds_read_b128 v[0:3], v109 offset:22784
	ds_read_b128 v[22:25], v108 offset:6400
	s_waitcnt lgkmcnt(2)
	;;#ASMSTART
	
             v_fmac_f32 v104, v8, v16 
             
	;;#ASMEND
	;;#ASMSTART
	
             v_fmac_f32 v105, v8, v17 
             
	;;#ASMEND
	;; [unrolled: 5-line block ×16, first 2 shown]
	s_waitcnt lgkmcnt(1)
	;;#ASMSTART
	
             v_fmac_f32 v92, v8, v0 
             
	;;#ASMEND
	;;#ASMSTART
	
             v_fmac_f32 v93, v8, v1 
             
	;;#ASMEND
	;; [unrolled: 5-line block ×16, first 2 shown]
	ds_read_b128 v[8:11], v108 offset:6656
	s_waitcnt lgkmcnt(1)
	;;#ASMSTART
	
             v_fmac_f32 v60, v22, v16 
             
	;;#ASMEND
	;;#ASMSTART
	
             v_fmac_f32 v61, v22, v17 
             
	;;#ASMEND
	;; [unrolled: 5-line block ×16, first 2 shown]
	ds_read_b128 v[16:19], v109 offset:23040
	;;#ASMSTART
	
             v_fmac_f32 v56, v22, v0 
             
	;;#ASMEND
	;;#ASMSTART
	
             v_fmac_f32 v57, v22, v1 
             
	;;#ASMEND
	;; [unrolled: 5-line block ×16, first 2 shown]
	ds_read_b128 v[0:3], v109 offset:23296
	ds_read_b128 v[22:25], v108 offset:6912
	s_waitcnt lgkmcnt(2)
	;;#ASMSTART
	
             v_fmac_f32 v104, v8, v16 
             
	;;#ASMEND
	;;#ASMSTART
	
             v_fmac_f32 v105, v8, v17 
             
	;;#ASMEND
	;; [unrolled: 5-line block ×16, first 2 shown]
	s_waitcnt lgkmcnt(1)
	;;#ASMSTART
	
             v_fmac_f32 v92, v8, v0 
             
	;;#ASMEND
	;;#ASMSTART
	
             v_fmac_f32 v93, v8, v1 
             
	;;#ASMEND
	;; [unrolled: 5-line block ×16, first 2 shown]
	ds_read_b128 v[8:11], v108 offset:7168
	s_waitcnt lgkmcnt(1)
	;;#ASMSTART
	
             v_fmac_f32 v60, v22, v16 
             
	;;#ASMEND
	;;#ASMSTART
	
             v_fmac_f32 v61, v22, v17 
             
	;;#ASMEND
	;; [unrolled: 5-line block ×16, first 2 shown]
	ds_read_b128 v[16:19], v109 offset:23552
	;;#ASMSTART
	
             v_fmac_f32 v56, v22, v0 
             
	;;#ASMEND
	;;#ASMSTART
	
             v_fmac_f32 v57, v22, v1 
             
	;;#ASMEND
	;; [unrolled: 5-line block ×16, first 2 shown]
	ds_read_b128 v[0:3], v109 offset:23808
	ds_read_b128 v[22:25], v108 offset:7424
	s_waitcnt lgkmcnt(2)
	;;#ASMSTART
	
             v_fmac_f32 v104, v8, v16 
             
	;;#ASMEND
	;;#ASMSTART
	
             v_fmac_f32 v105, v8, v17 
             
	;;#ASMEND
	;; [unrolled: 5-line block ×16, first 2 shown]
	s_waitcnt lgkmcnt(1)
	;;#ASMSTART
	
             v_fmac_f32 v92, v8, v0 
             
	;;#ASMEND
	;;#ASMSTART
	
             v_fmac_f32 v93, v8, v1 
             
	;;#ASMEND
	;; [unrolled: 5-line block ×16, first 2 shown]
	ds_read_b128 v[8:11], v108 offset:7680
	s_waitcnt lgkmcnt(1)
	;;#ASMSTART
	
             v_fmac_f32 v60, v22, v16 
             
	;;#ASMEND
	;;#ASMSTART
	
             v_fmac_f32 v61, v22, v17 
             
	;;#ASMEND
	;; [unrolled: 5-line block ×16, first 2 shown]
	ds_read_b128 v[16:19], v109 offset:24064
	;;#ASMSTART
	
             v_fmac_f32 v56, v22, v0 
             
	;;#ASMEND
	;;#ASMSTART
	
             v_fmac_f32 v57, v22, v1 
             
	;;#ASMEND
	;; [unrolled: 5-line block ×16, first 2 shown]
	ds_read_b128 v[0:3], v109 offset:24320
	ds_read_b128 v[22:25], v108 offset:7936
	s_waitcnt lgkmcnt(2)
	;;#ASMSTART
	
             v_fmac_f32 v104, v8, v16 
             
	;;#ASMEND
	;;#ASMSTART
	
             v_fmac_f32 v105, v8, v17 
             
	;;#ASMEND
	;; [unrolled: 5-line block ×16, first 2 shown]
	s_waitcnt lgkmcnt(1)
	;;#ASMSTART
	
             v_fmac_f32 v92, v8, v0 
             
	;;#ASMEND
	;;#ASMSTART
	
             v_fmac_f32 v93, v8, v1 
             
	;;#ASMEND
	;; [unrolled: 5-line block ×16, first 2 shown]
	s_waitcnt lgkmcnt(0)
	;;#ASMSTART
	
             v_fmac_f32 v60, v22, v16 
             
	;;#ASMEND
	;;#ASMSTART
	
             v_fmac_f32 v61, v22, v17 
             
	;;#ASMEND
	;; [unrolled: 5-line block ×29, first 2 shown]
	v_accvgpr_read_b32 v0, a9
	;;#ASMSTART
	
             v_fmac_f32 v119, v25, v1 
             
	;;#ASMEND
	;;#ASMSTART
	
             v_fmac_f32 v40, v25, v2 
             
	;;#ASMEND
	;; [unrolled: 5-line block ×3, first 2 shown]
	ds_write2st64_b32 v0, v29, v30 offset0:2 offset1:4
	ds_write2st64_b32 v0, v31, v27 offset0:6 offset1:8
	;; [unrolled: 1-line block ×3, first 2 shown]
	ds_write_b32 v0, v12 offset:3584
	v_accvgpr_read_b32 v0, a7
	ds_write2st64_b32 v0, v28, v33 offset0:32 offset1:96
	v_accvgpr_read_b32 v0, a8
	ds_write2st64_b32 v0, v32, v15 offset0:2 offset1:4
	ds_write2st64_b32 v0, v14, v35 offset0:6 offset1:8
	ds_write2st64_b32 v0, v34, v5 offset0:10 offset1:12
	ds_write_b32 v0, v4 offset:3584
	s_waitcnt lgkmcnt(0)
	s_barrier
	ds_read_b128 v[8:11], v108 offset:8192
	ds_read_b128 v[16:19], v109 offset:24576
	;; [unrolled: 1-line block ×4, first 2 shown]
	s_waitcnt lgkmcnt(2)
	;;#ASMSTART
	
             v_fmac_f32 v104, v8, v16 
             
	;;#ASMEND
	;;#ASMSTART
	
             v_fmac_f32 v105, v8, v17 
             
	;;#ASMEND
	;;#ASMSTART
	
             v_fmac_f32 v94, v8, v18 
             
	;;#ASMEND
	;;#ASMSTART
	
             v_fmac_f32 v95, v8, v19 
             
	;;#ASMEND
	;;#ASMSTART
	
             v_fmac_f32 v88, v9, v16 
             
	;;#ASMEND
	;;#ASMSTART
	
             v_fmac_f32 v89, v9, v17 
             
	;;#ASMEND
	;;#ASMSTART
	
             v_fmac_f32 v78, v9, v18 
             
	;;#ASMEND
	;;#ASMSTART
	
             v_fmac_f32 v79, v9, v19 
             
	;;#ASMEND
	;;#ASMSTART
	
             v_fmac_f32 v76, v10, v16 
             
	;;#ASMEND
	;;#ASMSTART
	
             v_fmac_f32 v77, v10, v17 
             
	;;#ASMEND
	;;#ASMSTART
	
             v_fmac_f32 v74, v10, v18 
             
	;;#ASMEND
	;;#ASMSTART
	
             v_fmac_f32 v75, v10, v19 
             
	;;#ASMEND
	;;#ASMSTART
	
             v_fmac_f32 v72, v11, v16 
             
	;;#ASMEND
	;;#ASMSTART
	
             v_fmac_f32 v73, v11, v17 
             
	;;#ASMEND
	;;#ASMSTART
	
             v_fmac_f32 v62, v11, v18 
             
	;;#ASMEND
	;;#ASMSTART
	
             v_fmac_f32 v63, v11, v19 
             
	;;#ASMEND
	s_waitcnt lgkmcnt(1)
	;;#ASMSTART
	
             v_fmac_f32 v92, v8, v0 
             
	;;#ASMEND
	;;#ASMSTART
	
             v_fmac_f32 v93, v8, v1 
             
	;;#ASMEND
	;; [unrolled: 5-line block ×16, first 2 shown]
	ds_read_b128 v[8:11], v108 offset:8704
	s_waitcnt lgkmcnt(1)
	;;#ASMSTART
	
             v_fmac_f32 v60, v22, v16 
             
	;;#ASMEND
	;;#ASMSTART
	
             v_fmac_f32 v61, v22, v17 
             
	;;#ASMEND
	;; [unrolled: 5-line block ×16, first 2 shown]
	ds_read_b128 v[16:19], v109 offset:25088
	;;#ASMSTART
	
             v_fmac_f32 v56, v22, v0 
             
	;;#ASMEND
	;;#ASMSTART
	
             v_fmac_f32 v57, v22, v1 
             
	;;#ASMEND
	;; [unrolled: 5-line block ×16, first 2 shown]
	ds_read_b128 v[0:3], v109 offset:25344
	ds_read_b128 v[22:25], v108 offset:8960
	s_waitcnt lgkmcnt(2)
	;;#ASMSTART
	
             v_fmac_f32 v104, v8, v16 
             
	;;#ASMEND
	;;#ASMSTART
	
             v_fmac_f32 v105, v8, v17 
             
	;;#ASMEND
	;; [unrolled: 5-line block ×16, first 2 shown]
	s_waitcnt lgkmcnt(1)
	;;#ASMSTART
	
             v_fmac_f32 v92, v8, v0 
             
	;;#ASMEND
	;;#ASMSTART
	
             v_fmac_f32 v93, v8, v1 
             
	;;#ASMEND
	;; [unrolled: 5-line block ×16, first 2 shown]
	ds_read_b128 v[8:11], v108 offset:9216
	s_waitcnt lgkmcnt(1)
	;;#ASMSTART
	
             v_fmac_f32 v60, v22, v16 
             
	;;#ASMEND
	;;#ASMSTART
	
             v_fmac_f32 v61, v22, v17 
             
	;;#ASMEND
	;; [unrolled: 5-line block ×16, first 2 shown]
	ds_read_b128 v[16:19], v109 offset:25600
	;;#ASMSTART
	
             v_fmac_f32 v56, v22, v0 
             
	;;#ASMEND
	;;#ASMSTART
	
             v_fmac_f32 v57, v22, v1 
             
	;;#ASMEND
	;; [unrolled: 5-line block ×16, first 2 shown]
	ds_read_b128 v[0:3], v109 offset:25856
	ds_read_b128 v[22:25], v108 offset:9472
	s_waitcnt lgkmcnt(2)
	;;#ASMSTART
	
             v_fmac_f32 v104, v8, v16 
             
	;;#ASMEND
	;;#ASMSTART
	
             v_fmac_f32 v105, v8, v17 
             
	;;#ASMEND
	;; [unrolled: 5-line block ×16, first 2 shown]
	s_waitcnt lgkmcnt(1)
	;;#ASMSTART
	
             v_fmac_f32 v92, v8, v0 
             
	;;#ASMEND
	;;#ASMSTART
	
             v_fmac_f32 v93, v8, v1 
             
	;;#ASMEND
	;;#ASMSTART
	
             v_fmac_f32 v90, v8, v2 
             
	;;#ASMEND
	;;#ASMSTART
	
             v_fmac_f32 v91, v8, v3 
             
	;;#ASMEND
	;;#ASMSTART
	
             v_fmac_f32 v70, v9, v0 
             
	;;#ASMEND
	;;#ASMSTART
	
             v_fmac_f32 v71, v9, v1 
             
	;;#ASMEND
	;;#ASMSTART
	
             v_fmac_f32 v68, v9, v2 
             
	;;#ASMEND
	;;#ASMSTART
	
             v_fmac_f32 v69, v9, v3 
             
	;;#ASMEND
	;;#ASMSTART
	
             v_fmac_f32 v66, v10, v0 
             
	;;#ASMEND
	;;#ASMSTART
	
             v_fmac_f32 v67, v10, v1 
             
	;;#ASMEND
	;;#ASMSTART
	
             v_fmac_f32 v64, v10, v2 
             
	;;#ASMEND
	;;#ASMSTART
	
             v_fmac_f32 v65, v10, v3 
             
	;;#ASMEND
	;;#ASMSTART
	
             v_fmac_f32 v82, v11, v0 
             
	;;#ASMEND
	;;#ASMSTART
	
             v_fmac_f32 v83, v11, v1 
             
	;;#ASMEND
	;;#ASMSTART
	
             v_fmac_f32 v80, v11, v2 
             
	;;#ASMEND
	;;#ASMSTART
	
             v_fmac_f32 v81, v11, v3 
             
	;;#ASMEND
	ds_read_b128 v[8:11], v108 offset:9728
	s_waitcnt lgkmcnt(1)
	;;#ASMSTART
	
             v_fmac_f32 v60, v22, v16 
             
	;;#ASMEND
	;;#ASMSTART
	
             v_fmac_f32 v61, v22, v17 
             
	;;#ASMEND
	;; [unrolled: 5-line block ×16, first 2 shown]
	ds_read_b128 v[16:19], v109 offset:26112
	;;#ASMSTART
	
             v_fmac_f32 v56, v22, v0 
             
	;;#ASMEND
	;;#ASMSTART
	
             v_fmac_f32 v57, v22, v1 
             
	;;#ASMEND
	;; [unrolled: 5-line block ×16, first 2 shown]
	ds_read_b128 v[0:3], v109 offset:26368
	ds_read_b128 v[22:25], v108 offset:9984
	s_waitcnt lgkmcnt(2)
	;;#ASMSTART
	
             v_fmac_f32 v104, v8, v16 
             
	;;#ASMEND
	;;#ASMSTART
	
             v_fmac_f32 v105, v8, v17 
             
	;;#ASMEND
	;; [unrolled: 5-line block ×16, first 2 shown]
	s_waitcnt lgkmcnt(1)
	;;#ASMSTART
	
             v_fmac_f32 v92, v8, v0 
             
	;;#ASMEND
	;;#ASMSTART
	
             v_fmac_f32 v93, v8, v1 
             
	;;#ASMEND
	;; [unrolled: 5-line block ×16, first 2 shown]
	ds_read_b128 v[8:11], v108 offset:10240
	s_waitcnt lgkmcnt(1)
	;;#ASMSTART
	
             v_fmac_f32 v60, v22, v16 
             
	;;#ASMEND
	;;#ASMSTART
	
             v_fmac_f32 v61, v22, v17 
             
	;;#ASMEND
	;; [unrolled: 5-line block ×16, first 2 shown]
	ds_read_b128 v[16:19], v109 offset:26624
	;;#ASMSTART
	
             v_fmac_f32 v56, v22, v0 
             
	;;#ASMEND
	;;#ASMSTART
	
             v_fmac_f32 v57, v22, v1 
             
	;;#ASMEND
	;; [unrolled: 5-line block ×16, first 2 shown]
	ds_read_b128 v[0:3], v109 offset:26880
	ds_read_b128 v[22:25], v108 offset:10496
	s_waitcnt lgkmcnt(2)
	;;#ASMSTART
	
             v_fmac_f32 v104, v8, v16 
             
	;;#ASMEND
	;;#ASMSTART
	
             v_fmac_f32 v105, v8, v17 
             
	;;#ASMEND
	;; [unrolled: 5-line block ×16, first 2 shown]
	s_waitcnt lgkmcnt(1)
	;;#ASMSTART
	
             v_fmac_f32 v92, v8, v0 
             
	;;#ASMEND
	;;#ASMSTART
	
             v_fmac_f32 v93, v8, v1 
             
	;;#ASMEND
	;; [unrolled: 5-line block ×16, first 2 shown]
	ds_read_b128 v[8:11], v108 offset:10752
	s_waitcnt lgkmcnt(1)
	;;#ASMSTART
	
             v_fmac_f32 v60, v22, v16 
             
	;;#ASMEND
	;;#ASMSTART
	
             v_fmac_f32 v61, v22, v17 
             
	;;#ASMEND
	;; [unrolled: 5-line block ×16, first 2 shown]
	ds_read_b128 v[16:19], v109 offset:27136
	;;#ASMSTART
	
             v_fmac_f32 v56, v22, v0 
             
	;;#ASMEND
	;;#ASMSTART
	
             v_fmac_f32 v57, v22, v1 
             
	;;#ASMEND
	;; [unrolled: 5-line block ×16, first 2 shown]
	ds_read_b128 v[0:3], v109 offset:27392
	ds_read_b128 v[22:25], v108 offset:11008
	s_waitcnt lgkmcnt(2)
	;;#ASMSTART
	
             v_fmac_f32 v104, v8, v16 
             
	;;#ASMEND
	;;#ASMSTART
	
             v_fmac_f32 v105, v8, v17 
             
	;;#ASMEND
	;; [unrolled: 5-line block ×16, first 2 shown]
	s_waitcnt lgkmcnt(1)
	;;#ASMSTART
	
             v_fmac_f32 v92, v8, v0 
             
	;;#ASMEND
	;;#ASMSTART
	
             v_fmac_f32 v93, v8, v1 
             
	;;#ASMEND
	;; [unrolled: 5-line block ×16, first 2 shown]
	ds_read_b128 v[8:11], v108 offset:11264
	s_waitcnt lgkmcnt(1)
	;;#ASMSTART
	
             v_fmac_f32 v60, v22, v16 
             
	;;#ASMEND
	;;#ASMSTART
	
             v_fmac_f32 v61, v22, v17 
             
	;;#ASMEND
	;; [unrolled: 5-line block ×16, first 2 shown]
	ds_read_b128 v[16:19], v109 offset:27648
	;;#ASMSTART
	
             v_fmac_f32 v56, v22, v0 
             
	;;#ASMEND
	;;#ASMSTART
	
             v_fmac_f32 v57, v22, v1 
             
	;;#ASMEND
	;; [unrolled: 5-line block ×16, first 2 shown]
	ds_read_b128 v[0:3], v109 offset:27904
	ds_read_b128 v[22:25], v108 offset:11520
	s_waitcnt lgkmcnt(2)
	;;#ASMSTART
	
             v_fmac_f32 v104, v8, v16 
             
	;;#ASMEND
	;;#ASMSTART
	
             v_fmac_f32 v105, v8, v17 
             
	;;#ASMEND
	;; [unrolled: 5-line block ×16, first 2 shown]
	s_waitcnt lgkmcnt(1)
	;;#ASMSTART
	
             v_fmac_f32 v92, v8, v0 
             
	;;#ASMEND
	;;#ASMSTART
	
             v_fmac_f32 v93, v8, v1 
             
	;;#ASMEND
	;; [unrolled: 5-line block ×16, first 2 shown]
	ds_read_b128 v[8:11], v108 offset:11776
	s_waitcnt lgkmcnt(1)
	;;#ASMSTART
	
             v_fmac_f32 v60, v22, v16 
             
	;;#ASMEND
	;;#ASMSTART
	
             v_fmac_f32 v61, v22, v17 
             
	;;#ASMEND
	;; [unrolled: 5-line block ×16, first 2 shown]
	ds_read_b128 v[16:19], v109 offset:28160
	;;#ASMSTART
	
             v_fmac_f32 v56, v22, v0 
             
	;;#ASMEND
	;;#ASMSTART
	
             v_fmac_f32 v57, v22, v1 
             
	;;#ASMEND
	;; [unrolled: 5-line block ×16, first 2 shown]
	ds_read_b128 v[0:3], v109 offset:28416
	ds_read_b128 v[22:25], v108 offset:12032
	s_waitcnt lgkmcnt(2)
	;;#ASMSTART
	
             v_fmac_f32 v104, v8, v16 
             
	;;#ASMEND
	;;#ASMSTART
	
             v_fmac_f32 v105, v8, v17 
             
	;;#ASMEND
	;; [unrolled: 5-line block ×16, first 2 shown]
	s_waitcnt lgkmcnt(1)
	;;#ASMSTART
	
             v_fmac_f32 v92, v8, v0 
             
	;;#ASMEND
	;;#ASMSTART
	
             v_fmac_f32 v93, v8, v1 
             
	;;#ASMEND
	;; [unrolled: 5-line block ×16, first 2 shown]
	ds_read_b128 v[8:11], v108 offset:12288
	s_waitcnt lgkmcnt(1)
	;;#ASMSTART
	
             v_fmac_f32 v60, v22, v16 
             
	;;#ASMEND
	;;#ASMSTART
	
             v_fmac_f32 v61, v22, v17 
             
	;;#ASMEND
	;; [unrolled: 5-line block ×16, first 2 shown]
	ds_read_b128 v[16:19], v109 offset:28672
	;;#ASMSTART
	
             v_fmac_f32 v56, v22, v0 
             
	;;#ASMEND
	;;#ASMSTART
	
             v_fmac_f32 v57, v22, v1 
             
	;;#ASMEND
	;; [unrolled: 5-line block ×16, first 2 shown]
	ds_read_b128 v[0:3], v109 offset:28928
	ds_read_b128 v[22:25], v108 offset:12544
	s_waitcnt lgkmcnt(2)
	;;#ASMSTART
	
             v_fmac_f32 v104, v8, v16 
             
	;;#ASMEND
	;;#ASMSTART
	
             v_fmac_f32 v105, v8, v17 
             
	;;#ASMEND
	;; [unrolled: 5-line block ×16, first 2 shown]
	s_waitcnt lgkmcnt(1)
	;;#ASMSTART
	
             v_fmac_f32 v92, v8, v0 
             
	;;#ASMEND
	;;#ASMSTART
	
             v_fmac_f32 v93, v8, v1 
             
	;;#ASMEND
	;; [unrolled: 5-line block ×16, first 2 shown]
	ds_read_b128 v[8:11], v108 offset:12800
	s_waitcnt lgkmcnt(1)
	;;#ASMSTART
	
             v_fmac_f32 v60, v22, v16 
             
	;;#ASMEND
	;;#ASMSTART
	
             v_fmac_f32 v61, v22, v17 
             
	;;#ASMEND
	;; [unrolled: 5-line block ×16, first 2 shown]
	ds_read_b128 v[16:19], v109 offset:29184
	;;#ASMSTART
	
             v_fmac_f32 v56, v22, v0 
             
	;;#ASMEND
	;;#ASMSTART
	
             v_fmac_f32 v57, v22, v1 
             
	;;#ASMEND
	;; [unrolled: 5-line block ×16, first 2 shown]
	ds_read_b128 v[0:3], v109 offset:29440
	ds_read_b128 v[22:25], v108 offset:13056
	s_waitcnt lgkmcnt(2)
	;;#ASMSTART
	
             v_fmac_f32 v104, v8, v16 
             
	;;#ASMEND
	;;#ASMSTART
	
             v_fmac_f32 v105, v8, v17 
             
	;;#ASMEND
	;; [unrolled: 5-line block ×16, first 2 shown]
	s_waitcnt lgkmcnt(1)
	;;#ASMSTART
	
             v_fmac_f32 v92, v8, v0 
             
	;;#ASMEND
	;;#ASMSTART
	
             v_fmac_f32 v93, v8, v1 
             
	;;#ASMEND
	;; [unrolled: 5-line block ×16, first 2 shown]
	ds_read_b128 v[8:11], v108 offset:13312
	s_waitcnt lgkmcnt(1)
	;;#ASMSTART
	
             v_fmac_f32 v60, v22, v16 
             
	;;#ASMEND
	;;#ASMSTART
	
             v_fmac_f32 v61, v22, v17 
             
	;;#ASMEND
	;; [unrolled: 5-line block ×16, first 2 shown]
	ds_read_b128 v[16:19], v109 offset:29696
	;;#ASMSTART
	
             v_fmac_f32 v56, v22, v0 
             
	;;#ASMEND
	;;#ASMSTART
	
             v_fmac_f32 v57, v22, v1 
             
	;;#ASMEND
	;; [unrolled: 5-line block ×16, first 2 shown]
	ds_read_b128 v[0:3], v109 offset:29952
	ds_read_b128 v[22:25], v108 offset:13568
	s_waitcnt lgkmcnt(2)
	;;#ASMSTART
	
             v_fmac_f32 v104, v8, v16 
             
	;;#ASMEND
	;;#ASMSTART
	
             v_fmac_f32 v105, v8, v17 
             
	;;#ASMEND
	;;#ASMSTART
	
             v_fmac_f32 v94, v8, v18 
             
	;;#ASMEND
	;;#ASMSTART
	
             v_fmac_f32 v95, v8, v19 
             
	;;#ASMEND
	;;#ASMSTART
	
             v_fmac_f32 v88, v9, v16 
             
	;;#ASMEND
	;;#ASMSTART
	
             v_fmac_f32 v89, v9, v17 
             
	;;#ASMEND
	;;#ASMSTART
	
             v_fmac_f32 v78, v9, v18 
             
	;;#ASMEND
	;;#ASMSTART
	
             v_fmac_f32 v79, v9, v19 
             
	;;#ASMEND
	;;#ASMSTART
	
             v_fmac_f32 v76, v10, v16 
             
	;;#ASMEND
	;;#ASMSTART
	
             v_fmac_f32 v77, v10, v17 
             
	;;#ASMEND
	;;#ASMSTART
	
             v_fmac_f32 v74, v10, v18 
             
	;;#ASMEND
	;;#ASMSTART
	
             v_fmac_f32 v75, v10, v19 
             
	;;#ASMEND
	;;#ASMSTART
	
             v_fmac_f32 v72, v11, v16 
             
	;;#ASMEND
	;;#ASMSTART
	
             v_fmac_f32 v73, v11, v17 
             
	;;#ASMEND
	;;#ASMSTART
	
             v_fmac_f32 v62, v11, v18 
             
	;;#ASMEND
	;;#ASMSTART
	
             v_fmac_f32 v63, v11, v19 
             
	;;#ASMEND
	s_waitcnt lgkmcnt(1)
	;;#ASMSTART
	
             v_fmac_f32 v92, v8, v0 
             
	;;#ASMEND
	;;#ASMSTART
	
             v_fmac_f32 v93, v8, v1 
             
	;;#ASMEND
	;; [unrolled: 5-line block ×16, first 2 shown]
	ds_read_b128 v[8:11], v108 offset:13824
	s_waitcnt lgkmcnt(1)
	;;#ASMSTART
	
             v_fmac_f32 v60, v22, v16 
             
	;;#ASMEND
	;;#ASMSTART
	
             v_fmac_f32 v61, v22, v17 
             
	;;#ASMEND
	;; [unrolled: 5-line block ×16, first 2 shown]
	ds_read_b128 v[16:19], v109 offset:30208
	;;#ASMSTART
	
             v_fmac_f32 v56, v22, v0 
             
	;;#ASMEND
	;;#ASMSTART
	
             v_fmac_f32 v57, v22, v1 
             
	;;#ASMEND
	;; [unrolled: 5-line block ×16, first 2 shown]
	ds_read_b128 v[0:3], v109 offset:30464
	ds_read_b128 v[22:25], v108 offset:14080
	s_waitcnt lgkmcnt(2)
	;;#ASMSTART
	
             v_fmac_f32 v104, v8, v16 
             
	;;#ASMEND
	;;#ASMSTART
	
             v_fmac_f32 v105, v8, v17 
             
	;;#ASMEND
	;; [unrolled: 5-line block ×16, first 2 shown]
	s_waitcnt lgkmcnt(1)
	;;#ASMSTART
	
             v_fmac_f32 v92, v8, v0 
             
	;;#ASMEND
	;;#ASMSTART
	
             v_fmac_f32 v93, v8, v1 
             
	;;#ASMEND
	;; [unrolled: 5-line block ×16, first 2 shown]
	ds_read_b128 v[8:11], v108 offset:14336
	s_waitcnt lgkmcnt(1)
	;;#ASMSTART
	
             v_fmac_f32 v60, v22, v16 
             
	;;#ASMEND
	;;#ASMSTART
	
             v_fmac_f32 v61, v22, v17 
             
	;;#ASMEND
	;; [unrolled: 5-line block ×16, first 2 shown]
	ds_read_b128 v[16:19], v109 offset:30720
	;;#ASMSTART
	
             v_fmac_f32 v56, v22, v0 
             
	;;#ASMEND
	;;#ASMSTART
	
             v_fmac_f32 v57, v22, v1 
             
	;;#ASMEND
	;; [unrolled: 5-line block ×16, first 2 shown]
	ds_read_b128 v[0:3], v109 offset:30976
	ds_read_b128 v[22:25], v108 offset:14592
	s_waitcnt lgkmcnt(2)
	;;#ASMSTART
	
             v_fmac_f32 v104, v8, v16 
             
	;;#ASMEND
	;;#ASMSTART
	
             v_fmac_f32 v105, v8, v17 
             
	;;#ASMEND
	;; [unrolled: 5-line block ×16, first 2 shown]
	s_waitcnt lgkmcnt(1)
	;;#ASMSTART
	
             v_fmac_f32 v92, v8, v0 
             
	;;#ASMEND
	;;#ASMSTART
	
             v_fmac_f32 v93, v8, v1 
             
	;;#ASMEND
	;; [unrolled: 5-line block ×16, first 2 shown]
	ds_read_b128 v[8:11], v108 offset:14848
	s_waitcnt lgkmcnt(1)
	;;#ASMSTART
	
             v_fmac_f32 v60, v22, v16 
             
	;;#ASMEND
	;;#ASMSTART
	
             v_fmac_f32 v61, v22, v17 
             
	;;#ASMEND
	;; [unrolled: 5-line block ×16, first 2 shown]
	ds_read_b128 v[16:19], v109 offset:31232
	;;#ASMSTART
	
             v_fmac_f32 v56, v22, v0 
             
	;;#ASMEND
	;;#ASMSTART
	
             v_fmac_f32 v57, v22, v1 
             
	;;#ASMEND
	;; [unrolled: 5-line block ×16, first 2 shown]
	ds_read_b128 v[0:3], v109 offset:31488
	ds_read_b128 v[22:25], v108 offset:15104
	s_waitcnt lgkmcnt(2)
	;;#ASMSTART
	
             v_fmac_f32 v104, v8, v16 
             
	;;#ASMEND
	;;#ASMSTART
	
             v_fmac_f32 v105, v8, v17 
             
	;;#ASMEND
	;; [unrolled: 5-line block ×16, first 2 shown]
	s_waitcnt lgkmcnt(1)
	;;#ASMSTART
	
             v_fmac_f32 v92, v8, v0 
             
	;;#ASMEND
	;;#ASMSTART
	
             v_fmac_f32 v93, v8, v1 
             
	;;#ASMEND
	;; [unrolled: 5-line block ×16, first 2 shown]
	ds_read_b128 v[8:11], v108 offset:15360
	s_waitcnt lgkmcnt(1)
	;;#ASMSTART
	
             v_fmac_f32 v60, v22, v16 
             
	;;#ASMEND
	;;#ASMSTART
	
             v_fmac_f32 v61, v22, v17 
             
	;;#ASMEND
	;; [unrolled: 5-line block ×16, first 2 shown]
	ds_read_b128 v[16:19], v109 offset:31744
	;;#ASMSTART
	
             v_fmac_f32 v56, v22, v0 
             
	;;#ASMEND
	;;#ASMSTART
	
             v_fmac_f32 v57, v22, v1 
             
	;;#ASMEND
	;; [unrolled: 5-line block ×16, first 2 shown]
	ds_read_b128 v[0:3], v109 offset:32000
	ds_read_b128 v[22:25], v108 offset:15616
	s_waitcnt lgkmcnt(2)
	;;#ASMSTART
	
             v_fmac_f32 v104, v8, v16 
             
	;;#ASMEND
	;;#ASMSTART
	
             v_fmac_f32 v105, v8, v17 
             
	;;#ASMEND
	;; [unrolled: 5-line block ×16, first 2 shown]
	s_waitcnt lgkmcnt(1)
	;;#ASMSTART
	
             v_fmac_f32 v92, v8, v0 
             
	;;#ASMEND
	;;#ASMSTART
	
             v_fmac_f32 v93, v8, v1 
             
	;;#ASMEND
	;; [unrolled: 5-line block ×16, first 2 shown]
	ds_read_b128 v[8:11], v108 offset:15872
	s_waitcnt lgkmcnt(1)
	;;#ASMSTART
	
             v_fmac_f32 v60, v22, v16 
             
	;;#ASMEND
	;;#ASMSTART
	
             v_fmac_f32 v61, v22, v17 
             
	;;#ASMEND
	;; [unrolled: 5-line block ×16, first 2 shown]
	ds_read_b128 v[16:19], v109 offset:32256
	;;#ASMSTART
	
             v_fmac_f32 v56, v22, v0 
             
	;;#ASMEND
	;;#ASMSTART
	
             v_fmac_f32 v57, v22, v1 
             
	;;#ASMEND
	;; [unrolled: 5-line block ×16, first 2 shown]
	ds_read_b128 v[0:3], v109 offset:32512
	ds_read_b128 v[22:25], v108 offset:16128
	s_waitcnt lgkmcnt(2)
	;;#ASMSTART
	
             v_fmac_f32 v104, v8, v16 
             
	;;#ASMEND
	;;#ASMSTART
	
             v_fmac_f32 v105, v8, v17 
             
	;;#ASMEND
	;; [unrolled: 5-line block ×16, first 2 shown]
	s_waitcnt lgkmcnt(1)
	;;#ASMSTART
	
             v_fmac_f32 v92, v8, v0 
             
	;;#ASMEND
	;;#ASMSTART
	
             v_fmac_f32 v93, v8, v1 
             
	;;#ASMEND
	;; [unrolled: 5-line block ×16, first 2 shown]
	s_waitcnt lgkmcnt(0)
	;;#ASMSTART
	
             v_fmac_f32 v60, v22, v16 
             
	;;#ASMEND
	;;#ASMSTART
	
             v_fmac_f32 v61, v22, v17 
             
	;;#ASMEND
	;; [unrolled: 5-line block ×30, first 2 shown]
	v_accvgpr_read_b32 v0, a4
	v_accvgpr_read_b32 v1, a5
	;;#ASMSTART
	
             v_fmac_f32 v40, v25, v2 
             
	;;#ASMEND
	;;#ASMSTART
	
             v_fmac_f32 v41, v25, v3 
             
	;;#ASMEND
	flat_load_dwordx2 v[4:5], v[0:1] offset:8
	flat_load_dword v10, v[0:1] offset:32
	flat_load_dword v107, v[0:1] offset:20
	s_nop 0
	flat_load_dword v1, v[0:1] offset:72
	v_accvgpr_read_b32 v0, a3
	v_lshl_add_u32 v14, s25, 7, v0
	v_accvgpr_read_b32 v0, a6
	v_lshl_add_u32 v106, s24, 7, v0
	v_mov_b32_e32 v23, 0x20000
	s_mov_b64 s[16:17], exec
	s_waitcnt vmcnt(0) lgkmcnt(0)
	v_mul_lo_u32 v0, v4, v106
	v_cmp_gt_i32_e32 vcc, v10, v14
	v_cmp_gt_i32_e64 s[6:7], v107, v106
	v_mad_u64_u32 v[8:9], s[4:5], v5, v14, v[0:1]
	s_and_b64 s[4:5], s[6:7], vcc
	v_lshlrev_b32_e32 v22, 2, v1
	v_lshlrev_b32_e32 v9, 2, v8
.LBB13_35:                              ; =>This Inner Loop Header: Depth=1
	v_readfirstlane_b32 s12, v20
	v_readfirstlane_b32 s13, v21
	;; [unrolled: 1-line block ×4, first 2 shown]
	v_cmp_eq_u64_e64 s[8:9], s[12:13], v[20:21]
	v_cmp_eq_u64_e64 s[10:11], s[14:15], v[22:23]
	s_and_b64 s[8:9], s[8:9], s[10:11]
	s_and_saveexec_b64 s[8:9], s[8:9]
	s_nop 0
	buffer_load_dwordx4 v[0:3], v9, s[12:15], 0 offen
                                        ; implicit-def: $vgpr9
	s_xor_b64 exec, exec, s[8:9]
	s_cbranch_execnz .LBB13_35
; %bb.36:
	s_mov_b64 exec, s[16:17]
	s_waitcnt vmcnt(0)
	v_cndmask_b32_e64 v3, 0, v3, s[4:5]
	v_cndmask_b32_e64 v2, 0, v2, s[4:5]
	;; [unrolled: 1-line block ×4, first 2 shown]
	v_add_u32_e32 v15, 64, v14
	v_pk_add_f32 v[0:1], v[104:105], v[0:1]
	v_pk_add_f32 v[2:3], v[94:95], v[2:3]
	v_lshlrev_b32_e32 v5, 6, v5
	v_cmp_gt_i32_e64 s[4:5], v10, v15
	v_max_f32_e32 v39, 0, v3
	v_max_f32_e32 v38, 0, v2
	;; [unrolled: 1-line block ×4, first 2 shown]
	s_and_b64 s[6:7], s[6:7], s[4:5]
	v_add_lshl_u32 v9, v8, v5, 2
	s_mov_b64 s[16:17], exec
.LBB13_37:                              ; =>This Inner Loop Header: Depth=1
	v_readfirstlane_b32 s12, v20
	v_readfirstlane_b32 s13, v21
	;; [unrolled: 1-line block ×4, first 2 shown]
	v_cmp_eq_u64_e64 s[8:9], s[12:13], v[20:21]
	v_cmp_eq_u64_e64 s[10:11], s[14:15], v[22:23]
	s_and_b64 s[8:9], s[8:9], s[10:11]
	s_and_saveexec_b64 s[8:9], s[8:9]
	s_nop 0
	buffer_load_dwordx4 v[0:3], v9, s[12:15], 0 offen
                                        ; implicit-def: $vgpr9
	s_xor_b64 exec, exec, s[8:9]
	s_cbranch_execnz .LBB13_37
; %bb.38:
	s_mov_b64 exec, s[16:17]
	s_waitcnt vmcnt(0)
	v_cndmask_b32_e64 v3, 0, v3, s[6:7]
	v_cndmask_b32_e64 v2, 0, v2, s[6:7]
	;; [unrolled: 1-line block ×4, first 2 shown]
	v_pk_add_f32 v[2:3], v[90:91], v[2:3]
	v_or_b32_e32 v90, 1, v106
	v_pk_add_f32 v[0:1], v[92:93], v[0:1]
	v_add_u32_e32 v8, v8, v4
	v_cmp_gt_i32_e64 s[6:7], v107, v90
	v_max_f32_e32 v51, 0, v3
	v_max_f32_e32 v50, 0, v2
	;; [unrolled: 1-line block ×4, first 2 shown]
	s_and_b64 s[8:9], s[6:7], vcc
	v_lshlrev_b32_e32 v9, 2, v8
	s_mov_b64 s[14:15], exec
.LBB13_39:                              ; =>This Inner Loop Header: Depth=1
	v_readfirstlane_b32 s16, v20
	v_readfirstlane_b32 s17, v21
	;; [unrolled: 1-line block ×4, first 2 shown]
	v_cmp_eq_u64_e64 s[10:11], s[16:17], v[20:21]
	v_cmp_eq_u64_e64 s[12:13], s[18:19], v[22:23]
	s_and_b64 s[10:11], s[10:11], s[12:13]
	s_and_saveexec_b64 s[10:11], s[10:11]
	s_nop 0
	buffer_load_dwordx4 v[0:3], v9, s[16:19], 0 offen
                                        ; implicit-def: $vgpr9
	s_xor_b64 exec, exec, s[10:11]
	s_cbranch_execnz .LBB13_39
; %bb.40:
	s_mov_b64 exec, s[14:15]
	s_waitcnt vmcnt(0)
	v_cndmask_b32_e64 v3, 0, v3, s[8:9]
	v_cndmask_b32_e64 v2, 0, v2, s[8:9]
	;; [unrolled: 1-line block ×4, first 2 shown]
	v_pk_add_f32 v[0:1], v[88:89], v[0:1]
	v_pk_add_f32 v[2:3], v[78:79], v[2:3]
	v_max_f32_e32 v19, 0, v3
	v_max_f32_e32 v18, 0, v2
	;; [unrolled: 1-line block ×4, first 2 shown]
	s_and_b64 s[6:7], s[6:7], s[4:5]
	v_add_lshl_u32 v9, v8, v5, 2
	s_mov_b64 s[16:17], exec
.LBB13_41:                              ; =>This Inner Loop Header: Depth=1
	v_readfirstlane_b32 s12, v20
	v_readfirstlane_b32 s13, v21
	;; [unrolled: 1-line block ×4, first 2 shown]
	v_cmp_eq_u64_e64 s[8:9], s[12:13], v[20:21]
	v_cmp_eq_u64_e64 s[10:11], s[14:15], v[22:23]
	s_and_b64 s[8:9], s[8:9], s[10:11]
	s_and_saveexec_b64 s[8:9], s[8:9]
	s_nop 0
	buffer_load_dwordx4 v[0:3], v9, s[12:15], 0 offen
                                        ; implicit-def: $vgpr9
	s_xor_b64 exec, exec, s[8:9]
	s_cbranch_execnz .LBB13_41
; %bb.42:
	s_mov_b64 exec, s[16:17]
	s_waitcnt vmcnt(0)
	v_cndmask_b32_e64 v3, 0, v3, s[6:7]
	v_cndmask_b32_e64 v2, 0, v2, s[6:7]
	;; [unrolled: 1-line block ×4, first 2 shown]
	v_or_b32_e32 v78, 2, v106
	v_pk_add_f32 v[0:1], v[70:71], v[0:1]
	v_pk_add_f32 v[2:3], v[68:69], v[2:3]
	v_add_u32_e32 v8, v8, v4
	v_cmp_gt_i32_e64 s[6:7], v107, v78
	v_max_f32_e32 v71, 0, v3
	v_max_f32_e32 v70, 0, v2
	;; [unrolled: 1-line block ×4, first 2 shown]
	s_and_b64 s[8:9], s[6:7], vcc
	v_lshlrev_b32_e32 v9, 2, v8
	s_mov_b64 s[14:15], exec
.LBB13_43:                              ; =>This Inner Loop Header: Depth=1
	v_readfirstlane_b32 s16, v20
	v_readfirstlane_b32 s17, v21
	;; [unrolled: 1-line block ×4, first 2 shown]
	v_cmp_eq_u64_e64 s[10:11], s[16:17], v[20:21]
	v_cmp_eq_u64_e64 s[12:13], s[18:19], v[22:23]
	s_and_b64 s[10:11], s[10:11], s[12:13]
	s_and_saveexec_b64 s[10:11], s[10:11]
	s_nop 0
	buffer_load_dwordx4 v[0:3], v9, s[16:19], 0 offen
                                        ; implicit-def: $vgpr9
	s_xor_b64 exec, exec, s[10:11]
	s_cbranch_execnz .LBB13_43
; %bb.44:
	s_mov_b64 exec, s[14:15]
	s_waitcnt vmcnt(0)
	v_cndmask_b32_e64 v3, 0, v3, s[8:9]
	v_cndmask_b32_e64 v2, 0, v2, s[8:9]
	v_cndmask_b32_e64 v1, 0, v1, s[8:9]
	v_cndmask_b32_e64 v0, 0, v0, s[8:9]
	v_pk_add_f32 v[0:1], v[76:77], v[0:1]
	v_pk_add_f32 v[2:3], v[74:75], v[2:3]
	v_max_f32_e32 v55, 0, v3
	v_max_f32_e32 v54, 0, v2
	;; [unrolled: 1-line block ×4, first 2 shown]
	s_and_b64 s[6:7], s[6:7], s[4:5]
	v_add_lshl_u32 v9, v8, v5, 2
	s_mov_b64 s[16:17], exec
.LBB13_45:                              ; =>This Inner Loop Header: Depth=1
	v_readfirstlane_b32 s12, v20
	v_readfirstlane_b32 s13, v21
	;; [unrolled: 1-line block ×4, first 2 shown]
	v_cmp_eq_u64_e64 s[8:9], s[12:13], v[20:21]
	v_cmp_eq_u64_e64 s[10:11], s[14:15], v[22:23]
	s_and_b64 s[8:9], s[8:9], s[10:11]
	s_and_saveexec_b64 s[8:9], s[8:9]
	s_nop 0
	buffer_load_dwordx4 v[0:3], v9, s[12:15], 0 offen
                                        ; implicit-def: $vgpr9
	s_xor_b64 exec, exec, s[8:9]
	s_cbranch_execnz .LBB13_45
; %bb.46:
	s_mov_b64 exec, s[16:17]
	s_waitcnt vmcnt(0)
	v_cndmask_b32_e64 v3, 0, v3, s[6:7]
	v_cndmask_b32_e64 v2, 0, v2, s[6:7]
	;; [unrolled: 1-line block ×4, first 2 shown]
	v_or_b32_e32 v74, 3, v106
	v_pk_add_f32 v[0:1], v[66:67], v[0:1]
	v_pk_add_f32 v[2:3], v[64:65], v[2:3]
	v_add_u32_e32 v8, v8, v4
	v_cmp_gt_i32_e64 s[6:7], v107, v74
	v_max_f32_e32 v67, 0, v3
	v_max_f32_e32 v66, 0, v2
	;; [unrolled: 1-line block ×4, first 2 shown]
	s_and_b64 s[8:9], s[6:7], vcc
	v_lshlrev_b32_e32 v9, 2, v8
	s_mov_b64 s[14:15], exec
.LBB13_47:                              ; =>This Inner Loop Header: Depth=1
	v_readfirstlane_b32 s16, v20
	v_readfirstlane_b32 s17, v21
	;; [unrolled: 1-line block ×4, first 2 shown]
	v_cmp_eq_u64_e64 s[10:11], s[16:17], v[20:21]
	v_cmp_eq_u64_e64 s[12:13], s[18:19], v[22:23]
	s_and_b64 s[10:11], s[10:11], s[12:13]
	s_and_saveexec_b64 s[10:11], s[10:11]
	s_nop 0
	buffer_load_dwordx4 v[0:3], v9, s[16:19], 0 offen
                                        ; implicit-def: $vgpr9
	s_xor_b64 exec, exec, s[10:11]
	s_cbranch_execnz .LBB13_47
; %bb.48:
	s_mov_b64 exec, s[14:15]
	s_waitcnt vmcnt(0)
	v_cndmask_b32_e64 v3, 0, v3, s[8:9]
	v_cndmask_b32_e64 v2, 0, v2, s[8:9]
	v_cndmask_b32_e64 v1, 0, v1, s[8:9]
	v_cndmask_b32_e64 v0, 0, v0, s[8:9]
	v_pk_add_f32 v[0:1], v[72:73], v[0:1]
	v_pk_add_f32 v[2:3], v[62:63], v[2:3]
	v_max_f32_e32 v35, 0, v3
	v_max_f32_e32 v34, 0, v2
	;; [unrolled: 1-line block ×4, first 2 shown]
	s_and_b64 s[6:7], s[6:7], s[4:5]
	v_add_lshl_u32 v9, v8, v5, 2
	s_mov_b64 s[16:17], exec
.LBB13_49:                              ; =>This Inner Loop Header: Depth=1
	v_readfirstlane_b32 s12, v20
	v_readfirstlane_b32 s13, v21
	v_readfirstlane_b32 s14, v22
	v_readfirstlane_b32 s15, v23
	v_cmp_eq_u64_e64 s[8:9], s[12:13], v[20:21]
	v_cmp_eq_u64_e64 s[10:11], s[14:15], v[22:23]
	s_and_b64 s[8:9], s[8:9], s[10:11]
	s_and_saveexec_b64 s[8:9], s[8:9]
	s_nop 0
	buffer_load_dwordx4 v[0:3], v9, s[12:15], 0 offen
                                        ; implicit-def: $vgpr9
	s_xor_b64 exec, exec, s[8:9]
	s_cbranch_execnz .LBB13_49
; %bb.50:
	s_mov_b64 exec, s[16:17]
	s_waitcnt vmcnt(0)
	v_cndmask_b32_e64 v3, 0, v3, s[6:7]
	v_cndmask_b32_e64 v2, 0, v2, s[6:7]
	;; [unrolled: 1-line block ×4, first 2 shown]
	v_add_u32_e32 v116, 64, v106
	v_mad_u64_u32 v[24:25], s[6:7], v4, 61, v[8:9]
	v_pk_add_f32 v[0:1], v[82:83], v[0:1]
	v_pk_add_f32 v[2:3], v[80:81], v[2:3]
	v_cmp_gt_i32_e64 s[6:7], v107, v116
	v_max_f32_e32 v83, 0, v3
	v_max_f32_e32 v82, 0, v2
	;; [unrolled: 1-line block ×4, first 2 shown]
	s_and_b64 s[8:9], s[6:7], vcc
	v_lshlrev_b32_e32 v8, 2, v24
	s_mov_b64 s[14:15], exec
.LBB13_51:                              ; =>This Inner Loop Header: Depth=1
	v_readfirstlane_b32 s16, v20
	v_readfirstlane_b32 s17, v21
	;; [unrolled: 1-line block ×4, first 2 shown]
	v_cmp_eq_u64_e64 s[10:11], s[16:17], v[20:21]
	v_cmp_eq_u64_e64 s[12:13], s[18:19], v[22:23]
	s_and_b64 s[10:11], s[10:11], s[12:13]
	s_and_saveexec_b64 s[10:11], s[10:11]
	s_nop 0
	buffer_load_dwordx4 v[0:3], v8, s[16:19], 0 offen
                                        ; implicit-def: $vgpr8
	s_xor_b64 exec, exec, s[10:11]
	s_cbranch_execnz .LBB13_51
; %bb.52:
	s_mov_b64 exec, s[14:15]
	s_waitcnt vmcnt(0)
	v_cndmask_b32_e64 v3, 0, v3, s[8:9]
	v_cndmask_b32_e64 v2, 0, v2, s[8:9]
	;; [unrolled: 1-line block ×4, first 2 shown]
	v_pk_add_f32 v[0:1], v[60:61], v[0:1]
	v_pk_add_f32 v[2:3], v[58:59], v[2:3]
	v_max_f32_e32 v3, 0, v3
	v_max_f32_e32 v2, 0, v2
	;; [unrolled: 1-line block ×4, first 2 shown]
	s_and_b64 s[6:7], s[6:7], s[4:5]
	v_add_lshl_u32 v12, v24, v5, 2
	s_mov_b64 s[16:17], exec
.LBB13_53:                              ; =>This Inner Loop Header: Depth=1
	v_readfirstlane_b32 s12, v20
	v_readfirstlane_b32 s13, v21
	v_readfirstlane_b32 s14, v22
	v_readfirstlane_b32 s15, v23
	v_cmp_eq_u64_e64 s[8:9], s[12:13], v[20:21]
	v_cmp_eq_u64_e64 s[10:11], s[14:15], v[22:23]
	s_and_b64 s[8:9], s[8:9], s[10:11]
	s_and_saveexec_b64 s[8:9], s[8:9]
	s_nop 0
	buffer_load_dwordx4 v[8:11], v12, s[12:15], 0 offen
                                        ; implicit-def: $vgpr12
	s_xor_b64 exec, exec, s[8:9]
	s_cbranch_execnz .LBB13_53
; %bb.54:
	s_mov_b64 exec, s[16:17]
	s_waitcnt vmcnt(0)
	v_cndmask_b32_e64 v11, 0, v11, s[6:7]
	v_cndmask_b32_e64 v10, 0, v10, s[6:7]
	;; [unrolled: 1-line block ×4, first 2 shown]
	v_pk_add_f32 v[8:9], v[56:57], v[8:9]
	v_pk_add_f32 v[10:11], v[46:47], v[10:11]
	v_add_u32_e32 v117, 0x41, v106
	v_max_f32_e32 v12, 0, v10
	v_max_f32_e32 v10, 0, v8
	v_add_u32_e32 v8, v24, v4
	v_cmp_gt_i32_e64 s[6:7], v107, v117
	v_max_f32_e32 v13, 0, v11
	v_max_f32_e32 v11, 0, v9
	s_and_b64 s[8:9], s[6:7], vcc
	v_lshlrev_b32_e32 v9, 2, v8
	s_mov_b64 s[14:15], exec
.LBB13_55:                              ; =>This Inner Loop Header: Depth=1
	v_readfirstlane_b32 s16, v20
	v_readfirstlane_b32 s17, v21
	;; [unrolled: 1-line block ×4, first 2 shown]
	v_cmp_eq_u64_e64 s[10:11], s[16:17], v[20:21]
	v_cmp_eq_u64_e64 s[12:13], s[18:19], v[22:23]
	s_and_b64 s[10:11], s[10:11], s[12:13]
	s_and_saveexec_b64 s[10:11], s[10:11]
	s_nop 0
	buffer_load_dwordx4 v[24:27], v9, s[16:19], 0 offen
                                        ; implicit-def: $vgpr9
	s_xor_b64 exec, exec, s[10:11]
	s_cbranch_execnz .LBB13_55
; %bb.56:
	s_mov_b64 exec, s[14:15]
	s_waitcnt vmcnt(0)
	v_cndmask_b32_e64 v27, 0, v27, s[8:9]
	v_cndmask_b32_e64 v26, 0, v26, s[8:9]
	;; [unrolled: 1-line block ×4, first 2 shown]
	v_pk_add_f32 v[24:25], v[44:45], v[24:25]
	v_pk_add_f32 v[26:27], v[42:43], v[26:27]
	v_max_f32_e32 v27, 0, v27
	v_max_f32_e32 v26, 0, v26
	;; [unrolled: 1-line block ×4, first 2 shown]
	s_and_b64 s[6:7], s[6:7], s[4:5]
	v_add_lshl_u32 v9, v8, v5, 2
	s_mov_b64 s[16:17], exec
.LBB13_57:                              ; =>This Inner Loop Header: Depth=1
	v_readfirstlane_b32 s12, v20
	v_readfirstlane_b32 s13, v21
	;; [unrolled: 1-line block ×4, first 2 shown]
	v_cmp_eq_u64_e64 s[8:9], s[12:13], v[20:21]
	v_cmp_eq_u64_e64 s[10:11], s[14:15], v[22:23]
	s_and_b64 s[8:9], s[8:9], s[10:11]
	s_and_saveexec_b64 s[8:9], s[8:9]
	s_nop 0
	buffer_load_dwordx4 v[28:31], v9, s[12:15], 0 offen
                                        ; implicit-def: $vgpr9
	s_xor_b64 exec, exec, s[8:9]
	s_cbranch_execnz .LBB13_57
; %bb.58:
	s_mov_b64 exec, s[16:17]
	s_waitcnt vmcnt(0)
	v_cndmask_b32_e64 v31, 0, v31, s[6:7]
	v_cndmask_b32_e64 v30, 0, v30, s[6:7]
	;; [unrolled: 1-line block ×4, first 2 shown]
	v_add_u32_e32 v42, 0x42, v106
	v_pk_add_f32 v[28:29], v[86:87], v[28:29]
	v_pk_add_f32 v[30:31], v[84:85], v[30:31]
	v_add_u32_e32 v8, v8, v4
	v_cmp_gt_i32_e64 s[6:7], v107, v42
	v_max_f32_e32 v31, 0, v31
	v_max_f32_e32 v30, 0, v30
	;; [unrolled: 1-line block ×4, first 2 shown]
	s_and_b64 s[8:9], s[6:7], vcc
	v_lshlrev_b32_e32 v9, 2, v8
	s_mov_b64 s[14:15], exec
.LBB13_59:                              ; =>This Inner Loop Header: Depth=1
	v_readfirstlane_b32 s16, v20
	v_readfirstlane_b32 s17, v21
	;; [unrolled: 1-line block ×4, first 2 shown]
	v_cmp_eq_u64_e64 s[10:11], s[16:17], v[20:21]
	v_cmp_eq_u64_e64 s[12:13], s[18:19], v[22:23]
	s_and_b64 s[10:11], s[10:11], s[12:13]
	s_and_saveexec_b64 s[10:11], s[10:11]
	s_nop 0
	buffer_load_dwordx4 v[84:87], v9, s[16:19], 0 offen
                                        ; implicit-def: $vgpr9
	s_xor_b64 exec, exec, s[10:11]
	s_cbranch_execnz .LBB13_59
; %bb.60:
	s_mov_b64 exec, s[14:15]
	s_waitcnt vmcnt(0)
	v_cndmask_b32_e64 v87, 0, v87, s[8:9]
	v_cndmask_b32_e64 v86, 0, v86, s[8:9]
	;; [unrolled: 1-line block ×4, first 2 shown]
	v_pk_add_f32 v[84:85], v[98:99], v[84:85]
	v_pk_add_f32 v[86:87], v[96:97], v[86:87]
	v_max_f32_e32 v87, 0, v87
	v_max_f32_e32 v86, 0, v86
	;; [unrolled: 1-line block ×4, first 2 shown]
	s_and_b64 s[6:7], s[6:7], s[4:5]
	v_add_lshl_u32 v9, v8, v5, 2
	s_mov_b64 s[16:17], exec
.LBB13_61:                              ; =>This Inner Loop Header: Depth=1
	v_readfirstlane_b32 s12, v20
	v_readfirstlane_b32 s13, v21
	;; [unrolled: 1-line block ×4, first 2 shown]
	v_cmp_eq_u64_e64 s[8:9], s[12:13], v[20:21]
	v_cmp_eq_u64_e64 s[10:11], s[14:15], v[22:23]
	s_and_b64 s[8:9], s[8:9], s[10:11]
	s_and_saveexec_b64 s[8:9], s[8:9]
	s_nop 0
	buffer_load_dwordx4 v[96:99], v9, s[12:15], 0 offen
                                        ; implicit-def: $vgpr9
	s_xor_b64 exec, exec, s[8:9]
	s_cbranch_execnz .LBB13_61
; %bb.62:
	s_mov_b64 exec, s[16:17]
	s_waitcnt vmcnt(0)
	v_cndmask_b32_e64 v99, 0, v99, s[6:7]
	v_cndmask_b32_e64 v98, 0, v98, s[6:7]
	v_cndmask_b32_e64 v97, 0, v97, s[6:7]
	v_cndmask_b32_e64 v96, 0, v96, s[6:7]
	v_add_u32_e32 v43, 0x43, v106
	v_pk_add_f32 v[96:97], v[102:103], v[96:97]
	v_pk_add_f32 v[98:99], v[100:101], v[98:99]
	v_add_u32_e32 v4, v8, v4
	v_cmp_gt_i32_e64 s[6:7], v107, v43
	v_max_f32_e32 v99, 0, v99
	v_max_f32_e32 v98, 0, v98
	;; [unrolled: 1-line block ×4, first 2 shown]
	s_and_b64 vcc, s[6:7], vcc
	v_lshlrev_b32_e32 v8, 2, v4
	s_mov_b64 s[16:17], exec
.LBB13_63:                              ; =>This Inner Loop Header: Depth=1
	v_readfirstlane_b32 s12, v20
	v_readfirstlane_b32 s13, v21
	;; [unrolled: 1-line block ×4, first 2 shown]
	v_cmp_eq_u64_e64 s[8:9], s[12:13], v[20:21]
	v_cmp_eq_u64_e64 s[10:11], s[14:15], v[22:23]
	s_and_b64 s[8:9], s[8:9], s[10:11]
	s_and_saveexec_b64 s[8:9], s[8:9]
	s_nop 0
	buffer_load_dwordx4 v[100:103], v8, s[12:15], 0 offen
                                        ; implicit-def: $vgpr8
	s_xor_b64 exec, exec, s[8:9]
	s_cbranch_execnz .LBB13_63
; %bb.64:
	s_mov_b64 exec, s[16:17]
	s_waitcnt vmcnt(0)
	v_cndmask_b32_e32 v9, 0, v103, vcc
	v_cndmask_b32_e32 v8, 0, v102, vcc
	;; [unrolled: 1-line block ×4, first 2 shown]
	v_pk_add_f32 v[100:101], v[114:115], v[100:101]
	v_pk_add_f32 v[8:9], v[112:113], v[8:9]
	v_max_f32_e32 v103, 0, v9
	v_max_f32_e32 v102, 0, v8
	v_max_f32_e32 v101, 0, v101
	v_max_f32_e32 v100, 0, v100
	s_and_b64 vcc, s[6:7], s[4:5]
	v_add_lshl_u32 v4, v4, v5, 2
	s_mov_b64 s[12:13], exec
.LBB13_65:                              ; =>This Inner Loop Header: Depth=1
	v_readfirstlane_b32 s8, v20
	v_readfirstlane_b32 s9, v21
	v_readfirstlane_b32 s10, v22
	v_readfirstlane_b32 s11, v23
	v_cmp_eq_u64_e64 s[4:5], s[8:9], v[20:21]
	v_cmp_eq_u64_e64 s[6:7], s[10:11], v[22:23]
	s_and_b64 s[4:5], s[4:5], s[6:7]
	s_and_saveexec_b64 s[4:5], s[4:5]
	s_nop 0
	buffer_load_dwordx4 v[112:115], v4, s[8:11], 0 offen
                                        ; implicit-def: $vgpr20_vgpr21_vgpr22_vgpr23
                                        ; implicit-def: $vgpr4
	s_xor_b64 exec, exec, s[4:5]
	s_cbranch_execnz .LBB13_65
; %bb.66:
	s_mov_b64 exec, s[12:13]
	v_accvgpr_read_b32 v9, a1
	v_accvgpr_read_b32 v8, a0
	flat_load_dwordx2 v[4:5], v[8:9] offset:8
	flat_load_dword v44, v[8:9] offset:32
	flat_load_dword v45, v[8:9] offset:20
	s_waitcnt vmcnt(0)
	v_cndmask_b32_e32 v21, 0, v115, vcc
	v_cndmask_b32_e32 v20, 0, v114, vcc
	;; [unrolled: 1-line block ×4, first 2 shown]
	v_bfrev_b32_e32 v114, 1
	v_accvgpr_read_b32 v8, a2
	v_pk_add_f32 v[112:113], v[118:119], v[22:23]
	v_pk_add_f32 v[20:21], v[40:41], v[20:21]
	v_lshlrev_b32_e32 v8, 2, v8
	v_mov_b32_e32 v9, 0x20000
	v_max_f32_e32 v23, 0, v21
	v_max_f32_e32 v22, 0, v20
	;; [unrolled: 1-line block ×4, first 2 shown]
	s_waitcnt lgkmcnt(0)
	v_mul_lo_u32 v4, v4, v106
	v_cmp_gt_i32_e32 vcc, v44, v14
	v_cmp_gt_i32_e64 s[4:5], v45, v106
	v_mad_u64_u32 v[4:5], s[6:7], v5, v14, v[4:5]
	s_and_b64 s[4:5], s[4:5], vcc
	v_cndmask_b32_e64 v5, v114, 0, s[4:5]
	v_lshl_add_u32 v5, v4, 2, v5
	s_mov_b64 s[6:7], exec
.LBB13_67:                              ; =>This Inner Loop Header: Depth=1
	v_readfirstlane_b32 s8, v6
	v_readfirstlane_b32 s9, v7
	;; [unrolled: 1-line block ×4, first 2 shown]
	v_cmp_eq_u64_e32 vcc, s[8:9], v[6:7]
	v_cmp_eq_u64_e64 s[4:5], s[10:11], v[8:9]
	s_and_b64 s[4:5], vcc, s[4:5]
	s_and_saveexec_b64 s[4:5], s[4:5]
	s_nop 0
	buffer_store_dwordx4 v[36:39], v5, s[8:11], 0 offen
                                        ; implicit-def: $vgpr36_vgpr37_vgpr38_vgpr39
                                        ; implicit-def: $vgpr5
	s_xor_b64 exec, exec, s[4:5]
	s_cbranch_execnz .LBB13_67
; %bb.68:
	s_mov_b64 exec, s[6:7]
	v_accvgpr_read_b32 v113, a1
	v_accvgpr_read_b32 v112, a0
	flat_load_dword v5, v[112:113] offset:12
	flat_load_dword v36, v[112:113] offset:32
	;; [unrolled: 1-line block ×3, first 2 shown]
	v_bfrev_b32_e32 v38, 1
	s_mov_b64 s[6:7], exec
	s_waitcnt vmcnt(0) lgkmcnt(0)
	v_lshl_add_u32 v4, v5, 6, v4
	v_cmp_gt_i32_e32 vcc, v36, v15
	v_cmp_gt_i32_e64 s[4:5], v37, v106
	s_and_b64 s[4:5], s[4:5], vcc
	v_cndmask_b32_e64 v5, v38, 0, s[4:5]
	v_lshl_add_u32 v5, v4, 2, v5
.LBB13_69:                              ; =>This Inner Loop Header: Depth=1
	v_readfirstlane_b32 s8, v6
	v_readfirstlane_b32 s9, v7
	;; [unrolled: 1-line block ×4, first 2 shown]
	v_cmp_eq_u64_e32 vcc, s[8:9], v[6:7]
	v_cmp_eq_u64_e64 s[4:5], s[10:11], v[8:9]
	s_and_b64 s[4:5], vcc, s[4:5]
	s_and_saveexec_b64 s[4:5], s[4:5]
	s_nop 0
	buffer_store_dwordx4 v[48:51], v5, s[8:11], 0 offen
                                        ; implicit-def: $vgpr48_vgpr49_vgpr50_vgpr51
                                        ; implicit-def: $vgpr5
	s_xor_b64 exec, exec, s[4:5]
	s_cbranch_execnz .LBB13_69
; %bb.70:
	s_mov_b64 exec, s[6:7]
	flat_load_dword v5, v[112:113] offset:8
	flat_load_dword v36, v[112:113] offset:32
	;; [unrolled: 1-line block ×3, first 2 shown]
	v_bfrev_b32_e32 v38, 1
	s_mov_b64 s[6:7], exec
	s_waitcnt vmcnt(0) lgkmcnt(0)
	v_add_u32_e32 v4, v5, v4
	v_cmp_gt_i32_e32 vcc, v36, v15
	v_cmp_gt_i32_e64 s[4:5], v37, v90
	s_and_b64 s[4:5], s[4:5], vcc
	v_cndmask_b32_e64 v5, v38, 0, s[4:5]
	v_lshl_add_u32 v5, v4, 2, v5
.LBB13_71:                              ; =>This Inner Loop Header: Depth=1
	v_readfirstlane_b32 s8, v6
	v_readfirstlane_b32 s9, v7
	;; [unrolled: 1-line block ×4, first 2 shown]
	v_cmp_eq_u64_e32 vcc, s[8:9], v[6:7]
	v_cmp_eq_u64_e64 s[4:5], s[10:11], v[8:9]
	s_and_b64 s[4:5], vcc, s[4:5]
	s_and_saveexec_b64 s[4:5], s[4:5]
	s_nop 0
	buffer_store_dwordx4 v[68:71], v5, s[8:11], 0 offen
                                        ; implicit-def: $vgpr68_vgpr69_vgpr70_vgpr71
                                        ; implicit-def: $vgpr5
	s_xor_b64 exec, exec, s[4:5]
	s_cbranch_execnz .LBB13_71
; %bb.72:
	s_mov_b64 exec, s[6:7]
	flat_load_dword v5, v[112:113] offset:12
	flat_load_dword v36, v[112:113] offset:32
	;; [unrolled: 1-line block ×3, first 2 shown]
	v_bfrev_b32_e32 v38, 1
	s_mov_b64 s[6:7], exec
	s_waitcnt vmcnt(0) lgkmcnt(0)
	v_lshlrev_b32_e32 v5, 6, v5
	v_cmp_gt_i32_e32 vcc, v36, v14
	v_cmp_gt_i32_e64 s[4:5], v37, v90
	s_and_b64 s[4:5], s[4:5], vcc
	v_sub_u32_e32 v4, v4, v5
	v_cndmask_b32_e64 v5, v38, 0, s[4:5]
	v_lshl_add_u32 v5, v4, 2, v5
.LBB13_73:                              ; =>This Inner Loop Header: Depth=1
	v_readfirstlane_b32 s8, v6
	v_readfirstlane_b32 s9, v7
	;; [unrolled: 1-line block ×4, first 2 shown]
	v_cmp_eq_u64_e32 vcc, s[8:9], v[6:7]
	v_cmp_eq_u64_e64 s[4:5], s[10:11], v[8:9]
	s_and_b64 s[4:5], vcc, s[4:5]
	s_and_saveexec_b64 s[4:5], s[4:5]
	s_nop 0
	buffer_store_dwordx4 v[16:19], v5, s[8:11], 0 offen
                                        ; implicit-def: $vgpr16_vgpr17_vgpr18_vgpr19
                                        ; implicit-def: $vgpr5
	s_xor_b64 exec, exec, s[4:5]
	s_cbranch_execnz .LBB13_73
; %bb.74:
	s_mov_b64 exec, s[6:7]
	flat_load_dword v5, v[112:113] offset:8
	flat_load_dword v16, v[112:113] offset:32
	;; [unrolled: 1-line block ×3, first 2 shown]
	v_bfrev_b32_e32 v18, 1
	s_mov_b64 s[6:7], exec
	s_waitcnt vmcnt(0) lgkmcnt(0)
	v_add_u32_e32 v4, v5, v4
	v_cmp_gt_i32_e32 vcc, v16, v14
	v_cmp_gt_i32_e64 s[4:5], v17, v78
	s_and_b64 s[4:5], s[4:5], vcc
	v_cndmask_b32_e64 v5, v18, 0, s[4:5]
	v_lshl_add_u32 v5, v4, 2, v5
.LBB13_75:                              ; =>This Inner Loop Header: Depth=1
	v_readfirstlane_b32 s8, v6
	v_readfirstlane_b32 s9, v7
	;; [unrolled: 1-line block ×4, first 2 shown]
	v_cmp_eq_u64_e32 vcc, s[8:9], v[6:7]
	v_cmp_eq_u64_e64 s[4:5], s[10:11], v[8:9]
	s_and_b64 s[4:5], vcc, s[4:5]
	s_and_saveexec_b64 s[4:5], s[4:5]
	s_nop 0
	buffer_store_dwordx4 v[52:55], v5, s[8:11], 0 offen
                                        ; implicit-def: $vgpr52_vgpr53_vgpr54_vgpr55
                                        ; implicit-def: $vgpr5
	s_xor_b64 exec, exec, s[4:5]
	s_cbranch_execnz .LBB13_75
; %bb.76:
	s_mov_b64 exec, s[6:7]
	flat_load_dword v5, v[112:113] offset:12
	flat_load_dword v16, v[112:113] offset:32
	;; [unrolled: 1-line block ×3, first 2 shown]
	v_bfrev_b32_e32 v18, 1
	s_mov_b64 s[6:7], exec
	s_waitcnt vmcnt(0) lgkmcnt(0)
	v_lshl_add_u32 v4, v5, 6, v4
	v_cmp_gt_i32_e32 vcc, v16, v15
	v_cmp_gt_i32_e64 s[4:5], v17, v78
	s_and_b64 s[4:5], s[4:5], vcc
	v_cndmask_b32_e64 v5, v18, 0, s[4:5]
	v_lshl_add_u32 v5, v4, 2, v5
.LBB13_77:                              ; =>This Inner Loop Header: Depth=1
	v_readfirstlane_b32 s8, v6
	v_readfirstlane_b32 s9, v7
	v_readfirstlane_b32 s10, v8
	v_readfirstlane_b32 s11, v9
	v_cmp_eq_u64_e32 vcc, s[8:9], v[6:7]
	v_cmp_eq_u64_e64 s[4:5], s[10:11], v[8:9]
	s_and_b64 s[4:5], vcc, s[4:5]
	s_and_saveexec_b64 s[4:5], s[4:5]
	s_nop 0
	buffer_store_dwordx4 v[64:67], v5, s[8:11], 0 offen
                                        ; implicit-def: $vgpr64_vgpr65_vgpr66_vgpr67
                                        ; implicit-def: $vgpr5
	s_xor_b64 exec, exec, s[4:5]
	s_cbranch_execnz .LBB13_77
; %bb.78:
	s_mov_b64 exec, s[6:7]
	flat_load_dword v5, v[112:113] offset:8
	flat_load_dword v16, v[112:113] offset:32
	;; [unrolled: 1-line block ×3, first 2 shown]
	v_bfrev_b32_e32 v18, 1
	s_mov_b64 s[6:7], exec
	s_waitcnt vmcnt(0) lgkmcnt(0)
	v_add_u32_e32 v4, v5, v4
	v_cmp_gt_i32_e32 vcc, v16, v15
	v_cmp_gt_i32_e64 s[4:5], v17, v74
	s_and_b64 s[4:5], s[4:5], vcc
	v_cndmask_b32_e64 v5, v18, 0, s[4:5]
	v_lshl_add_u32 v5, v4, 2, v5
.LBB13_79:                              ; =>This Inner Loop Header: Depth=1
	v_readfirstlane_b32 s8, v6
	v_readfirstlane_b32 s9, v7
	;; [unrolled: 1-line block ×4, first 2 shown]
	v_cmp_eq_u64_e32 vcc, s[8:9], v[6:7]
	v_cmp_eq_u64_e64 s[4:5], s[10:11], v[8:9]
	s_and_b64 s[4:5], vcc, s[4:5]
	s_and_saveexec_b64 s[4:5], s[4:5]
	s_nop 0
	buffer_store_dwordx4 v[80:83], v5, s[8:11], 0 offen
                                        ; implicit-def: $vgpr80_vgpr81_vgpr82_vgpr83
                                        ; implicit-def: $vgpr5
	s_xor_b64 exec, exec, s[4:5]
	s_cbranch_execnz .LBB13_79
; %bb.80:
	s_mov_b64 exec, s[6:7]
	flat_load_dword v5, v[112:113] offset:12
	flat_load_dword v16, v[112:113] offset:32
	;; [unrolled: 1-line block ×3, first 2 shown]
	v_bfrev_b32_e32 v18, 1
	s_mov_b64 s[6:7], exec
	s_waitcnt vmcnt(0) lgkmcnt(0)
	v_lshlrev_b32_e32 v5, 6, v5
	v_cmp_gt_i32_e32 vcc, v16, v14
	v_cmp_gt_i32_e64 s[4:5], v17, v74
	v_sub_u32_e32 v4, v4, v5
	s_and_b64 s[4:5], s[4:5], vcc
	v_cndmask_b32_e64 v5, v18, 0, s[4:5]
	v_lshlrev_b32_e32 v16, 2, v4
	v_add_u32_e32 v5, v5, v16
.LBB13_81:                              ; =>This Inner Loop Header: Depth=1
	v_readfirstlane_b32 s8, v6
	v_readfirstlane_b32 s9, v7
	;; [unrolled: 1-line block ×4, first 2 shown]
	v_cmp_eq_u64_e32 vcc, s[8:9], v[6:7]
	v_cmp_eq_u64_e64 s[4:5], s[10:11], v[8:9]
	s_and_b64 s[4:5], vcc, s[4:5]
	s_and_saveexec_b64 s[4:5], s[4:5]
	s_nop 0
	buffer_store_dwordx4 v[32:35], v5, s[8:11], 0 offen
                                        ; implicit-def: $vgpr32_vgpr33_vgpr34_vgpr35
                                        ; implicit-def: $vgpr5
	s_xor_b64 exec, exec, s[4:5]
	s_cbranch_execnz .LBB13_81
; %bb.82:
	s_mov_b64 exec, s[6:7]
	flat_load_dword v17, v[112:113] offset:32
	flat_load_dword v18, v[112:113] offset:20
	flat_load_dword v5, v[112:113] offset:8
	v_bfrev_b32_e32 v19, 1
	s_mov_b64 s[6:7], exec
	s_waitcnt vmcnt(0) lgkmcnt(0)
	v_cmp_gt_i32_e32 vcc, v17, v14
	v_cmp_gt_i32_e64 s[4:5], v18, v43
	s_and_b64 s[4:5], s[4:5], vcc
	v_lshlrev_b32_e32 v17, 8, v5
	v_cndmask_b32_e64 v18, v19, 0, s[4:5]
	v_add3_u32 v16, v17, v16, v18
.LBB13_83:                              ; =>This Inner Loop Header: Depth=1
	v_readfirstlane_b32 s8, v6
	v_readfirstlane_b32 s9, v7
	;; [unrolled: 1-line block ×4, first 2 shown]
	v_cmp_eq_u64_e32 vcc, s[8:9], v[6:7]
	v_cmp_eq_u64_e64 s[4:5], s[10:11], v[8:9]
	s_and_b64 s[4:5], vcc, s[4:5]
	s_and_saveexec_b64 s[4:5], s[4:5]
	s_nop 0
	buffer_store_dwordx4 v[100:103], v16, s[8:11], 0 offen
                                        ; implicit-def: $vgpr100_vgpr101_vgpr102_vgpr103
                                        ; implicit-def: $vgpr16
	s_xor_b64 exec, exec, s[4:5]
	s_cbranch_execnz .LBB13_83
; %bb.84:
	s_mov_b64 exec, s[6:7]
	flat_load_dword v16, v[112:113] offset:12
	flat_load_dword v17, v[112:113] offset:32
	;; [unrolled: 1-line block ×3, first 2 shown]
	v_bfrev_b32_e32 v19, 1
	s_mov_b64 s[6:7], exec
	s_waitcnt vmcnt(0) lgkmcnt(0)
	v_add_u32_e32 v5, v16, v5
	v_cmp_gt_i32_e32 vcc, v17, v15
	v_cmp_gt_i32_e64 s[4:5], v18, v43
	s_and_b64 s[4:5], s[4:5], vcc
	v_lshl_add_u32 v4, v5, 6, v4
	v_cndmask_b32_e64 v5, v19, 0, s[4:5]
	v_lshl_add_u32 v5, v4, 2, v5
.LBB13_85:                              ; =>This Inner Loop Header: Depth=1
	v_readfirstlane_b32 s8, v6
	v_readfirstlane_b32 s9, v7
	;; [unrolled: 1-line block ×4, first 2 shown]
	v_cmp_eq_u64_e32 vcc, s[8:9], v[6:7]
	v_cmp_eq_u64_e64 s[4:5], s[10:11], v[8:9]
	s_and_b64 s[4:5], vcc, s[4:5]
	s_and_saveexec_b64 s[4:5], s[4:5]
	s_nop 0
	buffer_store_dwordx4 v[20:23], v5, s[8:11], 0 offen
                                        ; implicit-def: $vgpr20_vgpr21_vgpr22_vgpr23
                                        ; implicit-def: $vgpr5
	s_xor_b64 exec, exec, s[4:5]
	s_cbranch_execnz .LBB13_85
; %bb.86:
	s_mov_b64 exec, s[6:7]
	flat_load_dword v5, v[112:113] offset:8
	flat_load_dword v16, v[112:113] offset:32
	;; [unrolled: 1-line block ×3, first 2 shown]
	v_bfrev_b32_e32 v18, 1
	s_mov_b64 s[6:7], exec
	s_waitcnt vmcnt(0) lgkmcnt(0)
	v_sub_u32_e32 v4, v4, v5
	v_cmp_gt_i32_e32 vcc, v16, v15
	v_cmp_ge_i32_e64 s[4:5], v17, v43
	s_and_b64 s[4:5], s[4:5], vcc
	v_cndmask_b32_e64 v5, v18, 0, s[4:5]
	v_lshl_add_u32 v5, v4, 2, v5
.LBB13_87:                              ; =>This Inner Loop Header: Depth=1
	v_readfirstlane_b32 s8, v6
	v_readfirstlane_b32 s9, v7
	;; [unrolled: 1-line block ×4, first 2 shown]
	v_cmp_eq_u64_e32 vcc, s[8:9], v[6:7]
	v_cmp_eq_u64_e64 s[4:5], s[10:11], v[8:9]
	s_and_b64 s[4:5], vcc, s[4:5]
	s_and_saveexec_b64 s[4:5], s[4:5]
	s_nop 0
	buffer_store_dwordx4 v[96:99], v5, s[8:11], 0 offen
                                        ; implicit-def: $vgpr96_vgpr97_vgpr98_vgpr99
                                        ; implicit-def: $vgpr5
	s_xor_b64 exec, exec, s[4:5]
	s_cbranch_execnz .LBB13_87
; %bb.88:
	s_mov_b64 exec, s[6:7]
	flat_load_dword v5, v[112:113] offset:12
	flat_load_dword v16, v[112:113] offset:32
	;; [unrolled: 1-line block ×3, first 2 shown]
	v_bfrev_b32_e32 v18, 1
	s_mov_b64 s[6:7], exec
	s_waitcnt vmcnt(0) lgkmcnt(0)
	v_lshlrev_b32_e32 v5, 6, v5
	v_cmp_gt_i32_e32 vcc, v16, v14
	v_cmp_gt_i32_e64 s[4:5], v17, v42
	s_and_b64 s[4:5], s[4:5], vcc
	v_sub_u32_e32 v4, v4, v5
	v_cndmask_b32_e64 v5, v18, 0, s[4:5]
	v_lshl_add_u32 v5, v4, 2, v5
.LBB13_89:                              ; =>This Inner Loop Header: Depth=1
	v_readfirstlane_b32 s8, v6
	v_readfirstlane_b32 s9, v7
	;; [unrolled: 1-line block ×4, first 2 shown]
	v_cmp_eq_u64_e32 vcc, s[8:9], v[6:7]
	v_cmp_eq_u64_e64 s[4:5], s[10:11], v[8:9]
	s_and_b64 s[4:5], vcc, s[4:5]
	s_and_saveexec_b64 s[4:5], s[4:5]
	s_nop 0
	buffer_store_dwordx4 v[84:87], v5, s[8:11], 0 offen
                                        ; implicit-def: $vgpr84_vgpr85_vgpr86_vgpr87
                                        ; implicit-def: $vgpr5
	s_xor_b64 exec, exec, s[4:5]
	s_cbranch_execnz .LBB13_89
; %bb.90:
	s_mov_b64 exec, s[6:7]
	flat_load_dword v5, v[112:113] offset:8
	flat_load_dword v16, v[112:113] offset:32
	;; [unrolled: 1-line block ×3, first 2 shown]
	v_bfrev_b32_e32 v18, 1
	s_mov_b64 s[6:7], exec
	s_waitcnt vmcnt(0) lgkmcnt(0)
	v_sub_u32_e32 v4, v4, v5
	v_cmp_gt_i32_e32 vcc, v16, v14
	v_cmp_ge_i32_e64 s[4:5], v17, v42
	s_and_b64 s[4:5], s[4:5], vcc
	v_cndmask_b32_e64 v5, v18, 0, s[4:5]
	v_lshl_add_u32 v5, v4, 2, v5
.LBB13_91:                              ; =>This Inner Loop Header: Depth=1
	v_readfirstlane_b32 s8, v6
	v_readfirstlane_b32 s9, v7
	;; [unrolled: 1-line block ×4, first 2 shown]
	v_cmp_eq_u64_e32 vcc, s[8:9], v[6:7]
	v_cmp_eq_u64_e64 s[4:5], s[10:11], v[8:9]
	s_and_b64 s[4:5], vcc, s[4:5]
	s_and_saveexec_b64 s[4:5], s[4:5]
	s_nop 0
	buffer_store_dwordx4 v[24:27], v5, s[8:11], 0 offen
                                        ; implicit-def: $vgpr24_vgpr25_vgpr26_vgpr27
                                        ; implicit-def: $vgpr5
	s_xor_b64 exec, exec, s[4:5]
	s_cbranch_execnz .LBB13_91
; %bb.92:
	s_mov_b64 exec, s[6:7]
	flat_load_dword v5, v[112:113] offset:12
	flat_load_dword v16, v[112:113] offset:32
	flat_load_dword v17, v[112:113] offset:20
	v_bfrev_b32_e32 v18, 1
	s_mov_b64 s[6:7], exec
	s_waitcnt vmcnt(0) lgkmcnt(0)
	v_lshl_add_u32 v4, v5, 6, v4
	v_cmp_gt_i32_e32 vcc, v16, v15
	v_cmp_gt_i32_e64 s[4:5], v17, v117
	s_and_b64 s[4:5], s[4:5], vcc
	v_cndmask_b32_e64 v5, v18, 0, s[4:5]
	v_lshl_add_u32 v5, v4, 2, v5
.LBB13_93:                              ; =>This Inner Loop Header: Depth=1
	v_readfirstlane_b32 s8, v6
	v_readfirstlane_b32 s9, v7
	;; [unrolled: 1-line block ×4, first 2 shown]
	v_cmp_eq_u64_e32 vcc, s[8:9], v[6:7]
	v_cmp_eq_u64_e64 s[4:5], s[10:11], v[8:9]
	s_and_b64 s[4:5], vcc, s[4:5]
	s_and_saveexec_b64 s[4:5], s[4:5]
	s_nop 0
	buffer_store_dwordx4 v[28:31], v5, s[8:11], 0 offen
                                        ; implicit-def: $vgpr28_vgpr29_vgpr30_vgpr31
                                        ; implicit-def: $vgpr5
	s_xor_b64 exec, exec, s[4:5]
	s_cbranch_execnz .LBB13_93
; %bb.94:
	s_mov_b64 exec, s[6:7]
	flat_load_dword v5, v[112:113] offset:8
	flat_load_dword v16, v[112:113] offset:32
	;; [unrolled: 1-line block ×3, first 2 shown]
	v_bfrev_b32_e32 v18, 1
	s_mov_b64 s[6:7], exec
	s_waitcnt vmcnt(0) lgkmcnt(0)
	v_sub_u32_e32 v4, v4, v5
	v_cmp_gt_i32_e32 vcc, v16, v15
	v_cmp_ge_i32_e64 s[4:5], v17, v117
	s_and_b64 s[4:5], s[4:5], vcc
	v_lshlrev_b32_e32 v4, 2, v4
	v_cndmask_b32_e64 v5, v18, 0, s[4:5]
	v_add_u32_e32 v5, v5, v4
.LBB13_95:                              ; =>This Inner Loop Header: Depth=1
	v_readfirstlane_b32 s8, v6
	v_readfirstlane_b32 s9, v7
	;; [unrolled: 1-line block ×4, first 2 shown]
	v_cmp_eq_u64_e32 vcc, s[8:9], v[6:7]
	v_cmp_eq_u64_e64 s[4:5], s[10:11], v[8:9]
	s_and_b64 s[4:5], vcc, s[4:5]
	s_and_saveexec_b64 s[4:5], s[4:5]
	s_nop 0
	buffer_store_dwordx4 v[10:13], v5, s[8:11], 0 offen
                                        ; implicit-def: $vgpr10_vgpr11_vgpr12_vgpr13
                                        ; implicit-def: $vgpr5
	s_xor_b64 exec, exec, s[4:5]
	s_cbranch_execnz .LBB13_95
; %bb.96:
	s_mov_b64 exec, s[6:7]
	flat_load_dword v5, v[112:113] offset:32
	flat_load_dword v10, v[112:113] offset:20
	;; [unrolled: 1-line block ×3, first 2 shown]
	v_bfrev_b32_e32 v12, 1
	s_mov_b64 s[6:7], exec
	s_waitcnt vmcnt(0) lgkmcnt(0)
	v_cmp_gt_i32_e32 vcc, v5, v14
	v_cmp_gt_i32_e64 s[4:5], v10, v116
	v_lshlrev_b32_e32 v5, 8, v11
	s_and_b64 s[4:5], s[4:5], vcc
	v_sub_u32_e32 v4, v4, v5
	v_cndmask_b32_e64 v5, v12, 0, s[4:5]
	v_add_u32_e32 v4, v4, v5
.LBB13_97:                              ; =>This Inner Loop Header: Depth=1
	v_readfirstlane_b32 s8, v6
	v_readfirstlane_b32 s9, v7
	;; [unrolled: 1-line block ×4, first 2 shown]
	v_cmp_eq_u64_e32 vcc, s[8:9], v[6:7]
	v_cmp_eq_u64_e64 s[4:5], s[10:11], v[8:9]
	s_and_b64 s[4:5], vcc, s[4:5]
	s_and_saveexec_b64 s[4:5], s[4:5]
	s_nop 0
	buffer_store_dwordx4 v[0:3], v4, s[8:11], 0 offen
                                        ; implicit-def: $vgpr6_vgpr7_vgpr8_vgpr9
                                        ; implicit-def: $vgpr0_vgpr1_vgpr2_vgpr3
                                        ; implicit-def: $vgpr4
	s_xor_b64 exec, exec, s[4:5]
	s_cbranch_execnz .LBB13_97
; %bb.98:
	s_mov_b64 exec, s[6:7]
	s_waitcnt vmcnt(0)
	s_setpc_b64 s[30:31]
.Lfunc_end13:
	.size	_ZN2ck32GridwiseGemmDlMultipleD_km_kn_mnILi256EffNS_5TupleIJfEEEfNS_16tensor_operation12element_wise11PassThroughES5_NS4_7AddReluELNS_25InMemoryDataOperationEnumE0ENS_16TensorDescriptorINS1_IJNS_5EmbedINS1_IJiiiiiEEESA_Lb0EEENS_11PassThroughIiEENS_3PadIiiiLb0EEESF_SF_SD_SD_NS9_INS1_IJiiEEESG_Lb0EEESH_SH_SD_NS_23Merge_v2_magic_divisionINS1_IJiiiiEEEEESK_NS_8RightPadIiiLb0EEESM_NS_7UnMergeISG_Lb0EEESD_EEENS1_IJNS_8SequenceIJLi0EEEENSQ_IJLi1EEEENSQ_IJLi2EEEENSQ_IJLi3EEEENSQ_IJLi4EEEENSQ_IJLi5EEEENSQ_IJLi6EEEENSQ_IJLi7EEEENSQ_IJLi8EEEENSQ_IJLi9EEEENSQ_IJLi10EEEENSQ_IJLi11ELi13ELi15ELi17EEEENSQ_IJLi12ELi14ELi16ELi18EEEENSQ_IJLi19EEEENSQ_IJLi20EEEENSQ_IJLi22EEEENSQ_IJLi21EEEEEEENS1_IJNSQ_IJLi1ELi2ELi3ELi4ELi5EEEESX_SY_SZ_S10_S11_NSQ_IJLi11EEEENSQ_IJLi12ELi13EEEENSQ_IJLi14ELi15EEEENSQ_IJLi16ELi17EEEENSQ_IJLi18EEEES14_S15_S17_S16_NSQ_IJLi23ELi24EEEENSQ_IJLi25EEEEEEENSQ_IJLi23ELi25ELi24EEEElEENS8_INS1_IJSO_SM_SM_SO_SD_EEENS1_IJSR_SS_ST_SV_SU_EEENS1_IJNSQ_IJLi1ELi2EEEESU_SV_NSQ_IJLi5ELi6EEEESY_EEENSQ_IJLi5ELi7ELi6EEEElEENS8_INS1_IJSH_SM_SM_EEENS1_IJSR_SS_ST_EEENS1_IJS1M_SU_SV_EEENSQ_IJLi3ELi4EEEElEELi128ELi128ELi16ELi1ELi4ELi4ELi1ENSQ_IJLi8ELi2EEEES1W_NSQ_IJLi8ELi1ELi1ELi1EEEENSQ_IJLi2ELi1ELi128ELi1EEEENSQ_IJLi1ELi2ELi0ELi3EEEES1Z_NSQ_IJLi4ELi1ELi1ELi1EEEES1Z_NSQ_IJLi1ELi1ELi1ELi1EEEES1X_S1Y_S1Z_S1Z_S20_S1Z_S21_NSQ_IJLi0ELi1ELi2ELi3ELi4ELi5EEEELi5ELi4EE3RunINS1_IJNS8_INS1_IJSH_SM_SM_NSN_INS1_IJiNS_17integral_constantIiLi2EEENS25_IiLi64EEEEEELb0EEES29_EEENS1_IJSR_SS_ST_SU_SV_EEENS1_IJS1M_SU_SV_NSQ_IJLi5ELi6ELi7EEEENSQ_IJLi8ELi9ELi10EEEEEEENSQ_IJLi5ELi6ELi7ELi8ELi9ELi10EEEElEEEEELb1ELb1ENS_31BlockToCTileMap_M00_N00_M01_N01ILi128ELi128ES1V_Lb0EEEEEvPKfS2L_NS1_IJS2L_EEEPfPvRKS5_S2Q_RKS6_RKNS8_INS1_IJSB_SD_SF_SF_SF_SD_SD_SH_SH_SH_SD_SK_SK_SM_SM_SO_SD_SD_NSN_INS1_IJiNS25_IiLi128EEEEEELb0EEENSC_INS25_IiLi1EEEEEEEENS1_IJSR_SS_ST_SU_SV_SW_SX_SY_SZ_S10_S11_S12_S13_S14_S15_S16_S17_NSQ_IJLi23EEEES1G_NSQ_IJLi24EEEEEEENS1_IJS19_SX_SY_SZ_S10_S11_S1A_S1B_S1C_S1D_S1E_S14_S15_S17_S16_S1F_S1G_NSQ_IJLi26EEEENSQ_IJLi27ELi28EEEENSQ_IJLi29EEEEEEENSQ_IJLi26ELi27ELi28ELi29EEEElEERKNS8_INS1_IJSO_SM_SM_SO_SD_SD_S2V_S2X_EEENS1_IJSR_SS_ST_SV_SU_SW_SY_SX_EEENS1_IJS1M_SU_SV_S1N_SY_SZ_NSQ_IJLi9ELi10EEEES1A_EEENSQ_IJLi8ELi9ELi10ELi11EEEElEERKT_RKS2G_RKT2_NS25_IbXT0_EEENS25_IbXT1_EEE, .Lfunc_end13-_ZN2ck32GridwiseGemmDlMultipleD_km_kn_mnILi256EffNS_5TupleIJfEEEfNS_16tensor_operation12element_wise11PassThroughES5_NS4_7AddReluELNS_25InMemoryDataOperationEnumE0ENS_16TensorDescriptorINS1_IJNS_5EmbedINS1_IJiiiiiEEESA_Lb0EEENS_11PassThroughIiEENS_3PadIiiiLb0EEESF_SF_SD_SD_NS9_INS1_IJiiEEESG_Lb0EEESH_SH_SD_NS_23Merge_v2_magic_divisionINS1_IJiiiiEEEEESK_NS_8RightPadIiiLb0EEESM_NS_7UnMergeISG_Lb0EEESD_EEENS1_IJNS_8SequenceIJLi0EEEENSQ_IJLi1EEEENSQ_IJLi2EEEENSQ_IJLi3EEEENSQ_IJLi4EEEENSQ_IJLi5EEEENSQ_IJLi6EEEENSQ_IJLi7EEEENSQ_IJLi8EEEENSQ_IJLi9EEEENSQ_IJLi10EEEENSQ_IJLi11ELi13ELi15ELi17EEEENSQ_IJLi12ELi14ELi16ELi18EEEENSQ_IJLi19EEEENSQ_IJLi20EEEENSQ_IJLi22EEEENSQ_IJLi21EEEEEEENS1_IJNSQ_IJLi1ELi2ELi3ELi4ELi5EEEESX_SY_SZ_S10_S11_NSQ_IJLi11EEEENSQ_IJLi12ELi13EEEENSQ_IJLi14ELi15EEEENSQ_IJLi16ELi17EEEENSQ_IJLi18EEEES14_S15_S17_S16_NSQ_IJLi23ELi24EEEENSQ_IJLi25EEEEEEENSQ_IJLi23ELi25ELi24EEEElEENS8_INS1_IJSO_SM_SM_SO_SD_EEENS1_IJSR_SS_ST_SV_SU_EEENS1_IJNSQ_IJLi1ELi2EEEESU_SV_NSQ_IJLi5ELi6EEEESY_EEENSQ_IJLi5ELi7ELi6EEEElEENS8_INS1_IJSH_SM_SM_EEENS1_IJSR_SS_ST_EEENS1_IJS1M_SU_SV_EEENSQ_IJLi3ELi4EEEElEELi128ELi128ELi16ELi1ELi4ELi4ELi1ENSQ_IJLi8ELi2EEEES1W_NSQ_IJLi8ELi1ELi1ELi1EEEENSQ_IJLi2ELi1ELi128ELi1EEEENSQ_IJLi1ELi2ELi0ELi3EEEES1Z_NSQ_IJLi4ELi1ELi1ELi1EEEES1Z_NSQ_IJLi1ELi1ELi1ELi1EEEES1X_S1Y_S1Z_S1Z_S20_S1Z_S21_NSQ_IJLi0ELi1ELi2ELi3ELi4ELi5EEEELi5ELi4EE3RunINS1_IJNS8_INS1_IJSH_SM_SM_NSN_INS1_IJiNS_17integral_constantIiLi2EEENS25_IiLi64EEEEEELb0EEES29_EEENS1_IJSR_SS_ST_SU_SV_EEENS1_IJS1M_SU_SV_NSQ_IJLi5ELi6ELi7EEEENSQ_IJLi8ELi9ELi10EEEEEEENSQ_IJLi5ELi6ELi7ELi8ELi9ELi10EEEElEEEEELb1ELb1ENS_31BlockToCTileMap_M00_N00_M01_N01ILi128ELi128ES1V_Lb0EEEEEvPKfS2L_NS1_IJS2L_EEEPfPvRKS5_S2Q_RKS6_RKNS8_INS1_IJSB_SD_SF_SF_SF_SD_SD_SH_SH_SH_SD_SK_SK_SM_SM_SO_SD_SD_NSN_INS1_IJiNS25_IiLi128EEEEEELb0EEENSC_INS25_IiLi1EEEEEEEENS1_IJSR_SS_ST_SU_SV_SW_SX_SY_SZ_S10_S11_S12_S13_S14_S15_S16_S17_NSQ_IJLi23EEEES1G_NSQ_IJLi24EEEEEEENS1_IJS19_SX_SY_SZ_S10_S11_S1A_S1B_S1C_S1D_S1E_S14_S15_S17_S16_S1F_S1G_NSQ_IJLi26EEEENSQ_IJLi27ELi28EEEENSQ_IJLi29EEEEEEENSQ_IJLi26ELi27ELi28ELi29EEEElEERKNS8_INS1_IJSO_SM_SM_SO_SD_SD_S2V_S2X_EEENS1_IJSR_SS_ST_SV_SU_SW_SY_SX_EEENS1_IJS1M_SU_SV_S1N_SY_SZ_NSQ_IJLi9ELi10EEEES1A_EEENSQ_IJLi8ELi9ELi10ELi11EEEElEERKT_RKS2G_RKT2_NS25_IbXT0_EEENS25_IbXT1_EEE
                                        ; -- End function
	.section	.AMDGPU.csdata,"",@progbits
; Function info:
; codeLenInByte = 46628
; NumSgprs: 36
; NumVgprs: 128
; NumAgprs: 17
; TotalNumVgprs: 145
; ScratchSize: 0
; MemoryBound: 0
	.section	.text._ZN2ck16tensor_operation6device12_GLOBAL__N_137kernel_grouped_conv_fwd_dl_multiple_dINS_32GridwiseGemmDlMultipleD_km_kn_mnILi256EffNS_5TupleIJfEEEfNS0_12element_wise11PassThroughES8_NS7_7AddReluELNS_25InMemoryDataOperationEnumE0ENS_16TensorDescriptorINS5_IJNS_5EmbedINS5_IJiiiiiEEESD_Lb0EEENS_11PassThroughIiEENS_3PadIiiiLb0EEESI_SI_SG_SG_NSC_INS5_IJiiEEESJ_Lb0EEESK_SK_SG_NS_23Merge_v2_magic_divisionINS5_IJiiiiEEEEESN_NS_8RightPadIiiLb0EEESP_NS_7UnMergeISJ_Lb0EEESG_EEENS5_IJNS_8SequenceIJLi0EEEENST_IJLi1EEEENST_IJLi2EEEENST_IJLi3EEEENST_IJLi4EEEENST_IJLi5EEEENST_IJLi6EEEENST_IJLi7EEEENST_IJLi8EEEENST_IJLi9EEEENST_IJLi10EEEENST_IJLi11ELi13ELi15ELi17EEEENST_IJLi12ELi14ELi16ELi18EEEENST_IJLi19EEEENST_IJLi20EEEENST_IJLi22EEEENST_IJLi21EEEEEEENS5_IJNST_IJLi1ELi2ELi3ELi4ELi5EEEES10_S11_S12_S13_S14_NST_IJLi11EEEENST_IJLi12ELi13EEEENST_IJLi14ELi15EEEENST_IJLi16ELi17EEEENST_IJLi18EEEES17_S18_S1A_S19_NST_IJLi23ELi24EEEENST_IJLi25EEEEEEENST_IJLi23ELi25ELi24EEEElEENSB_INS5_IJSR_SP_SP_SR_SG_EEENS5_IJSU_SV_SW_SY_SX_EEENS5_IJNST_IJLi1ELi2EEEESX_SY_NST_IJLi5ELi6EEEES11_EEENST_IJLi5ELi7ELi6EEEElEENSB_INS5_IJSK_SP_SP_EEENS5_IJSU_SV_SW_EEENS5_IJS1P_SX_SY_EEENST_IJLi3ELi4EEEElEELi128ELi128ELi16ELi1ELi4ELi4ELi1ENST_IJLi8ELi2EEEES1Z_NST_IJLi8ELi1ELi1ELi1EEEENST_IJLi2ELi1ELi128ELi1EEEENST_IJLi1ELi2ELi0ELi3EEEES22_NST_IJLi4ELi1ELi1ELi1EEEES22_NST_IJLi1ELi1ELi1ELi1EEEES20_S21_S22_S22_S23_S22_S24_NST_IJLi0ELi1ELi2ELi3ELi4ELi5EEEELi5ELi4EEEfNS5_IJPKfEEEfS8_S8_S9_NSB_INS5_IJSE_SG_SI_SI_SI_SG_SG_SK_SK_SK_SG_SN_SN_SP_SP_SR_SG_SG_NSQ_INS5_IJiNS_17integral_constantIiLi128EEEEEELb0EEENSF_INS2A_IiLi1EEEEEEEENS5_IJSU_SV_SW_SX_SY_SZ_S10_S11_S12_S13_S14_S15_S16_S17_S18_S19_S1A_NST_IJLi23EEEES1J_NST_IJLi24EEEEEEENS5_IJS1C_S10_S11_S12_S13_S14_S1D_S1E_S1F_S1G_S1H_S17_S18_S1A_S19_S1I_S1J_NST_IJLi26EEEENST_IJLi27ELi28EEEENST_IJLi29EEEEEEENST_IJLi26ELi27ELi28ELi29EEEElEENSB_INS5_IJSR_SP_SP_SR_SG_SG_S2D_S2F_EEENS5_IJSU_SV_SW_SY_SX_SZ_S11_S10_EEENS5_IJS1P_SX_SY_S1Q_S11_S12_NST_IJLi9ELi10EEEES1D_EEENST_IJLi8ELi9ELi10ELi11EEEElEENS5_IJNSB_INS5_IJSK_SP_SP_NSQ_INS5_IJiNS2A_IiLi2EEENS2A_IiLi64EEEEEELb0EEES2Z_EEENS5_IJSU_SV_SW_SX_SY_EEENS5_IJS1P_SX_SY_NST_IJLi5ELi6ELi7EEEENST_IJLi8ELi9ELi10EEEEEEENST_IJLi5ELi6ELi7ELi8ELi9ELi10EEEElEEEEES36_NS_31BlockToCTileMap_M00_N00_M01_N01ILi128ELi128ES1Y_Lb0EEENS1_30ComputePtrOffsetOfStridedBatchILi1ELi1ELi1EvEELb1ELb1EEEvPKT0_S3E_T1_PT2_T3_T4_T5_iT6_T7_T8_T9_T10_T11_,"axG",@progbits,_ZN2ck16tensor_operation6device12_GLOBAL__N_137kernel_grouped_conv_fwd_dl_multiple_dINS_32GridwiseGemmDlMultipleD_km_kn_mnILi256EffNS_5TupleIJfEEEfNS0_12element_wise11PassThroughES8_NS7_7AddReluELNS_25InMemoryDataOperationEnumE0ENS_16TensorDescriptorINS5_IJNS_5EmbedINS5_IJiiiiiEEESD_Lb0EEENS_11PassThroughIiEENS_3PadIiiiLb0EEESI_SI_SG_SG_NSC_INS5_IJiiEEESJ_Lb0EEESK_SK_SG_NS_23Merge_v2_magic_divisionINS5_IJiiiiEEEEESN_NS_8RightPadIiiLb0EEESP_NS_7UnMergeISJ_Lb0EEESG_EEENS5_IJNS_8SequenceIJLi0EEEENST_IJLi1EEEENST_IJLi2EEEENST_IJLi3EEEENST_IJLi4EEEENST_IJLi5EEEENST_IJLi6EEEENST_IJLi7EEEENST_IJLi8EEEENST_IJLi9EEEENST_IJLi10EEEENST_IJLi11ELi13ELi15ELi17EEEENST_IJLi12ELi14ELi16ELi18EEEENST_IJLi19EEEENST_IJLi20EEEENST_IJLi22EEEENST_IJLi21EEEEEEENS5_IJNST_IJLi1ELi2ELi3ELi4ELi5EEEES10_S11_S12_S13_S14_NST_IJLi11EEEENST_IJLi12ELi13EEEENST_IJLi14ELi15EEEENST_IJLi16ELi17EEEENST_IJLi18EEEES17_S18_S1A_S19_NST_IJLi23ELi24EEEENST_IJLi25EEEEEEENST_IJLi23ELi25ELi24EEEElEENSB_INS5_IJSR_SP_SP_SR_SG_EEENS5_IJSU_SV_SW_SY_SX_EEENS5_IJNST_IJLi1ELi2EEEESX_SY_NST_IJLi5ELi6EEEES11_EEENST_IJLi5ELi7ELi6EEEElEENSB_INS5_IJSK_SP_SP_EEENS5_IJSU_SV_SW_EEENS5_IJS1P_SX_SY_EEENST_IJLi3ELi4EEEElEELi128ELi128ELi16ELi1ELi4ELi4ELi1ENST_IJLi8ELi2EEEES1Z_NST_IJLi8ELi1ELi1ELi1EEEENST_IJLi2ELi1ELi128ELi1EEEENST_IJLi1ELi2ELi0ELi3EEEES22_NST_IJLi4ELi1ELi1ELi1EEEES22_NST_IJLi1ELi1ELi1ELi1EEEES20_S21_S22_S22_S23_S22_S24_NST_IJLi0ELi1ELi2ELi3ELi4ELi5EEEELi5ELi4EEEfNS5_IJPKfEEEfS8_S8_S9_NSB_INS5_IJSE_SG_SI_SI_SI_SG_SG_SK_SK_SK_SG_SN_SN_SP_SP_SR_SG_SG_NSQ_INS5_IJiNS_17integral_constantIiLi128EEEEEELb0EEENSF_INS2A_IiLi1EEEEEEEENS5_IJSU_SV_SW_SX_SY_SZ_S10_S11_S12_S13_S14_S15_S16_S17_S18_S19_S1A_NST_IJLi23EEEES1J_NST_IJLi24EEEEEEENS5_IJS1C_S10_S11_S12_S13_S14_S1D_S1E_S1F_S1G_S1H_S17_S18_S1A_S19_S1I_S1J_NST_IJLi26EEEENST_IJLi27ELi28EEEENST_IJLi29EEEEEEENST_IJLi26ELi27ELi28ELi29EEEElEENSB_INS5_IJSR_SP_SP_SR_SG_SG_S2D_S2F_EEENS5_IJSU_SV_SW_SY_SX_SZ_S11_S10_EEENS5_IJS1P_SX_SY_S1Q_S11_S12_NST_IJLi9ELi10EEEES1D_EEENST_IJLi8ELi9ELi10ELi11EEEElEENS5_IJNSB_INS5_IJSK_SP_SP_NSQ_INS5_IJiNS2A_IiLi2EEENS2A_IiLi64EEEEEELb0EEES2Z_EEENS5_IJSU_SV_SW_SX_SY_EEENS5_IJS1P_SX_SY_NST_IJLi5ELi6ELi7EEEENST_IJLi8ELi9ELi10EEEEEEENST_IJLi5ELi6ELi7ELi8ELi9ELi10EEEElEEEEES36_NS_31BlockToCTileMap_M00_N00_M01_N01ILi128ELi128ES1Y_Lb0EEENS1_30ComputePtrOffsetOfStridedBatchILi1ELi1ELi1EvEELb1ELb1EEEvPKT0_S3E_T1_PT2_T3_T4_T5_iT6_T7_T8_T9_T10_T11_,comdat
	.globl	_ZN2ck16tensor_operation6device12_GLOBAL__N_137kernel_grouped_conv_fwd_dl_multiple_dINS_32GridwiseGemmDlMultipleD_km_kn_mnILi256EffNS_5TupleIJfEEEfNS0_12element_wise11PassThroughES8_NS7_7AddReluELNS_25InMemoryDataOperationEnumE0ENS_16TensorDescriptorINS5_IJNS_5EmbedINS5_IJiiiiiEEESD_Lb0EEENS_11PassThroughIiEENS_3PadIiiiLb0EEESI_SI_SG_SG_NSC_INS5_IJiiEEESJ_Lb0EEESK_SK_SG_NS_23Merge_v2_magic_divisionINS5_IJiiiiEEEEESN_NS_8RightPadIiiLb0EEESP_NS_7UnMergeISJ_Lb0EEESG_EEENS5_IJNS_8SequenceIJLi0EEEENST_IJLi1EEEENST_IJLi2EEEENST_IJLi3EEEENST_IJLi4EEEENST_IJLi5EEEENST_IJLi6EEEENST_IJLi7EEEENST_IJLi8EEEENST_IJLi9EEEENST_IJLi10EEEENST_IJLi11ELi13ELi15ELi17EEEENST_IJLi12ELi14ELi16ELi18EEEENST_IJLi19EEEENST_IJLi20EEEENST_IJLi22EEEENST_IJLi21EEEEEEENS5_IJNST_IJLi1ELi2ELi3ELi4ELi5EEEES10_S11_S12_S13_S14_NST_IJLi11EEEENST_IJLi12ELi13EEEENST_IJLi14ELi15EEEENST_IJLi16ELi17EEEENST_IJLi18EEEES17_S18_S1A_S19_NST_IJLi23ELi24EEEENST_IJLi25EEEEEEENST_IJLi23ELi25ELi24EEEElEENSB_INS5_IJSR_SP_SP_SR_SG_EEENS5_IJSU_SV_SW_SY_SX_EEENS5_IJNST_IJLi1ELi2EEEESX_SY_NST_IJLi5ELi6EEEES11_EEENST_IJLi5ELi7ELi6EEEElEENSB_INS5_IJSK_SP_SP_EEENS5_IJSU_SV_SW_EEENS5_IJS1P_SX_SY_EEENST_IJLi3ELi4EEEElEELi128ELi128ELi16ELi1ELi4ELi4ELi1ENST_IJLi8ELi2EEEES1Z_NST_IJLi8ELi1ELi1ELi1EEEENST_IJLi2ELi1ELi128ELi1EEEENST_IJLi1ELi2ELi0ELi3EEEES22_NST_IJLi4ELi1ELi1ELi1EEEES22_NST_IJLi1ELi1ELi1ELi1EEEES20_S21_S22_S22_S23_S22_S24_NST_IJLi0ELi1ELi2ELi3ELi4ELi5EEEELi5ELi4EEEfNS5_IJPKfEEEfS8_S8_S9_NSB_INS5_IJSE_SG_SI_SI_SI_SG_SG_SK_SK_SK_SG_SN_SN_SP_SP_SR_SG_SG_NSQ_INS5_IJiNS_17integral_constantIiLi128EEEEEELb0EEENSF_INS2A_IiLi1EEEEEEEENS5_IJSU_SV_SW_SX_SY_SZ_S10_S11_S12_S13_S14_S15_S16_S17_S18_S19_S1A_NST_IJLi23EEEES1J_NST_IJLi24EEEEEEENS5_IJS1C_S10_S11_S12_S13_S14_S1D_S1E_S1F_S1G_S1H_S17_S18_S1A_S19_S1I_S1J_NST_IJLi26EEEENST_IJLi27ELi28EEEENST_IJLi29EEEEEEENST_IJLi26ELi27ELi28ELi29EEEElEENSB_INS5_IJSR_SP_SP_SR_SG_SG_S2D_S2F_EEENS5_IJSU_SV_SW_SY_SX_SZ_S11_S10_EEENS5_IJS1P_SX_SY_S1Q_S11_S12_NST_IJLi9ELi10EEEES1D_EEENST_IJLi8ELi9ELi10ELi11EEEElEENS5_IJNSB_INS5_IJSK_SP_SP_NSQ_INS5_IJiNS2A_IiLi2EEENS2A_IiLi64EEEEEELb0EEES2Z_EEENS5_IJSU_SV_SW_SX_SY_EEENS5_IJS1P_SX_SY_NST_IJLi5ELi6ELi7EEEENST_IJLi8ELi9ELi10EEEEEEENST_IJLi5ELi6ELi7ELi8ELi9ELi10EEEElEEEEES36_NS_31BlockToCTileMap_M00_N00_M01_N01ILi128ELi128ES1Y_Lb0EEENS1_30ComputePtrOffsetOfStridedBatchILi1ELi1ELi1EvEELb1ELb1EEEvPKT0_S3E_T1_PT2_T3_T4_T5_iT6_T7_T8_T9_T10_T11_ ; -- Begin function _ZN2ck16tensor_operation6device12_GLOBAL__N_137kernel_grouped_conv_fwd_dl_multiple_dINS_32GridwiseGemmDlMultipleD_km_kn_mnILi256EffNS_5TupleIJfEEEfNS0_12element_wise11PassThroughES8_NS7_7AddReluELNS_25InMemoryDataOperationEnumE0ENS_16TensorDescriptorINS5_IJNS_5EmbedINS5_IJiiiiiEEESD_Lb0EEENS_11PassThroughIiEENS_3PadIiiiLb0EEESI_SI_SG_SG_NSC_INS5_IJiiEEESJ_Lb0EEESK_SK_SG_NS_23Merge_v2_magic_divisionINS5_IJiiiiEEEEESN_NS_8RightPadIiiLb0EEESP_NS_7UnMergeISJ_Lb0EEESG_EEENS5_IJNS_8SequenceIJLi0EEEENST_IJLi1EEEENST_IJLi2EEEENST_IJLi3EEEENST_IJLi4EEEENST_IJLi5EEEENST_IJLi6EEEENST_IJLi7EEEENST_IJLi8EEEENST_IJLi9EEEENST_IJLi10EEEENST_IJLi11ELi13ELi15ELi17EEEENST_IJLi12ELi14ELi16ELi18EEEENST_IJLi19EEEENST_IJLi20EEEENST_IJLi22EEEENST_IJLi21EEEEEEENS5_IJNST_IJLi1ELi2ELi3ELi4ELi5EEEES10_S11_S12_S13_S14_NST_IJLi11EEEENST_IJLi12ELi13EEEENST_IJLi14ELi15EEEENST_IJLi16ELi17EEEENST_IJLi18EEEES17_S18_S1A_S19_NST_IJLi23ELi24EEEENST_IJLi25EEEEEEENST_IJLi23ELi25ELi24EEEElEENSB_INS5_IJSR_SP_SP_SR_SG_EEENS5_IJSU_SV_SW_SY_SX_EEENS5_IJNST_IJLi1ELi2EEEESX_SY_NST_IJLi5ELi6EEEES11_EEENST_IJLi5ELi7ELi6EEEElEENSB_INS5_IJSK_SP_SP_EEENS5_IJSU_SV_SW_EEENS5_IJS1P_SX_SY_EEENST_IJLi3ELi4EEEElEELi128ELi128ELi16ELi1ELi4ELi4ELi1ENST_IJLi8ELi2EEEES1Z_NST_IJLi8ELi1ELi1ELi1EEEENST_IJLi2ELi1ELi128ELi1EEEENST_IJLi1ELi2ELi0ELi3EEEES22_NST_IJLi4ELi1ELi1ELi1EEEES22_NST_IJLi1ELi1ELi1ELi1EEEES20_S21_S22_S22_S23_S22_S24_NST_IJLi0ELi1ELi2ELi3ELi4ELi5EEEELi5ELi4EEEfNS5_IJPKfEEEfS8_S8_S9_NSB_INS5_IJSE_SG_SI_SI_SI_SG_SG_SK_SK_SK_SG_SN_SN_SP_SP_SR_SG_SG_NSQ_INS5_IJiNS_17integral_constantIiLi128EEEEEELb0EEENSF_INS2A_IiLi1EEEEEEEENS5_IJSU_SV_SW_SX_SY_SZ_S10_S11_S12_S13_S14_S15_S16_S17_S18_S19_S1A_NST_IJLi23EEEES1J_NST_IJLi24EEEEEEENS5_IJS1C_S10_S11_S12_S13_S14_S1D_S1E_S1F_S1G_S1H_S17_S18_S1A_S19_S1I_S1J_NST_IJLi26EEEENST_IJLi27ELi28EEEENST_IJLi29EEEEEEENST_IJLi26ELi27ELi28ELi29EEEElEENSB_INS5_IJSR_SP_SP_SR_SG_SG_S2D_S2F_EEENS5_IJSU_SV_SW_SY_SX_SZ_S11_S10_EEENS5_IJS1P_SX_SY_S1Q_S11_S12_NST_IJLi9ELi10EEEES1D_EEENST_IJLi8ELi9ELi10ELi11EEEElEENS5_IJNSB_INS5_IJSK_SP_SP_NSQ_INS5_IJiNS2A_IiLi2EEENS2A_IiLi64EEEEEELb0EEES2Z_EEENS5_IJSU_SV_SW_SX_SY_EEENS5_IJS1P_SX_SY_NST_IJLi5ELi6ELi7EEEENST_IJLi8ELi9ELi10EEEEEEENST_IJLi5ELi6ELi7ELi8ELi9ELi10EEEElEEEEES36_NS_31BlockToCTileMap_M00_N00_M01_N01ILi128ELi128ES1Y_Lb0EEENS1_30ComputePtrOffsetOfStridedBatchILi1ELi1ELi1EvEELb1ELb1EEEvPKT0_S3E_T1_PT2_T3_T4_T5_iT6_T7_T8_T9_T10_T11_
	.p2align	8
	.type	_ZN2ck16tensor_operation6device12_GLOBAL__N_137kernel_grouped_conv_fwd_dl_multiple_dINS_32GridwiseGemmDlMultipleD_km_kn_mnILi256EffNS_5TupleIJfEEEfNS0_12element_wise11PassThroughES8_NS7_7AddReluELNS_25InMemoryDataOperationEnumE0ENS_16TensorDescriptorINS5_IJNS_5EmbedINS5_IJiiiiiEEESD_Lb0EEENS_11PassThroughIiEENS_3PadIiiiLb0EEESI_SI_SG_SG_NSC_INS5_IJiiEEESJ_Lb0EEESK_SK_SG_NS_23Merge_v2_magic_divisionINS5_IJiiiiEEEEESN_NS_8RightPadIiiLb0EEESP_NS_7UnMergeISJ_Lb0EEESG_EEENS5_IJNS_8SequenceIJLi0EEEENST_IJLi1EEEENST_IJLi2EEEENST_IJLi3EEEENST_IJLi4EEEENST_IJLi5EEEENST_IJLi6EEEENST_IJLi7EEEENST_IJLi8EEEENST_IJLi9EEEENST_IJLi10EEEENST_IJLi11ELi13ELi15ELi17EEEENST_IJLi12ELi14ELi16ELi18EEEENST_IJLi19EEEENST_IJLi20EEEENST_IJLi22EEEENST_IJLi21EEEEEEENS5_IJNST_IJLi1ELi2ELi3ELi4ELi5EEEES10_S11_S12_S13_S14_NST_IJLi11EEEENST_IJLi12ELi13EEEENST_IJLi14ELi15EEEENST_IJLi16ELi17EEEENST_IJLi18EEEES17_S18_S1A_S19_NST_IJLi23ELi24EEEENST_IJLi25EEEEEEENST_IJLi23ELi25ELi24EEEElEENSB_INS5_IJSR_SP_SP_SR_SG_EEENS5_IJSU_SV_SW_SY_SX_EEENS5_IJNST_IJLi1ELi2EEEESX_SY_NST_IJLi5ELi6EEEES11_EEENST_IJLi5ELi7ELi6EEEElEENSB_INS5_IJSK_SP_SP_EEENS5_IJSU_SV_SW_EEENS5_IJS1P_SX_SY_EEENST_IJLi3ELi4EEEElEELi128ELi128ELi16ELi1ELi4ELi4ELi1ENST_IJLi8ELi2EEEES1Z_NST_IJLi8ELi1ELi1ELi1EEEENST_IJLi2ELi1ELi128ELi1EEEENST_IJLi1ELi2ELi0ELi3EEEES22_NST_IJLi4ELi1ELi1ELi1EEEES22_NST_IJLi1ELi1ELi1ELi1EEEES20_S21_S22_S22_S23_S22_S24_NST_IJLi0ELi1ELi2ELi3ELi4ELi5EEEELi5ELi4EEEfNS5_IJPKfEEEfS8_S8_S9_NSB_INS5_IJSE_SG_SI_SI_SI_SG_SG_SK_SK_SK_SG_SN_SN_SP_SP_SR_SG_SG_NSQ_INS5_IJiNS_17integral_constantIiLi128EEEEEELb0EEENSF_INS2A_IiLi1EEEEEEEENS5_IJSU_SV_SW_SX_SY_SZ_S10_S11_S12_S13_S14_S15_S16_S17_S18_S19_S1A_NST_IJLi23EEEES1J_NST_IJLi24EEEEEEENS5_IJS1C_S10_S11_S12_S13_S14_S1D_S1E_S1F_S1G_S1H_S17_S18_S1A_S19_S1I_S1J_NST_IJLi26EEEENST_IJLi27ELi28EEEENST_IJLi29EEEEEEENST_IJLi26ELi27ELi28ELi29EEEElEENSB_INS5_IJSR_SP_SP_SR_SG_SG_S2D_S2F_EEENS5_IJSU_SV_SW_SY_SX_SZ_S11_S10_EEENS5_IJS1P_SX_SY_S1Q_S11_S12_NST_IJLi9ELi10EEEES1D_EEENST_IJLi8ELi9ELi10ELi11EEEElEENS5_IJNSB_INS5_IJSK_SP_SP_NSQ_INS5_IJiNS2A_IiLi2EEENS2A_IiLi64EEEEEELb0EEES2Z_EEENS5_IJSU_SV_SW_SX_SY_EEENS5_IJS1P_SX_SY_NST_IJLi5ELi6ELi7EEEENST_IJLi8ELi9ELi10EEEEEEENST_IJLi5ELi6ELi7ELi8ELi9ELi10EEEElEEEEES36_NS_31BlockToCTileMap_M00_N00_M01_N01ILi128ELi128ES1Y_Lb0EEENS1_30ComputePtrOffsetOfStridedBatchILi1ELi1ELi1EvEELb1ELb1EEEvPKT0_S3E_T1_PT2_T3_T4_T5_iT6_T7_T8_T9_T10_T11_,@function
_ZN2ck16tensor_operation6device12_GLOBAL__N_137kernel_grouped_conv_fwd_dl_multiple_dINS_32GridwiseGemmDlMultipleD_km_kn_mnILi256EffNS_5TupleIJfEEEfNS0_12element_wise11PassThroughES8_NS7_7AddReluELNS_25InMemoryDataOperationEnumE0ENS_16TensorDescriptorINS5_IJNS_5EmbedINS5_IJiiiiiEEESD_Lb0EEENS_11PassThroughIiEENS_3PadIiiiLb0EEESI_SI_SG_SG_NSC_INS5_IJiiEEESJ_Lb0EEESK_SK_SG_NS_23Merge_v2_magic_divisionINS5_IJiiiiEEEEESN_NS_8RightPadIiiLb0EEESP_NS_7UnMergeISJ_Lb0EEESG_EEENS5_IJNS_8SequenceIJLi0EEEENST_IJLi1EEEENST_IJLi2EEEENST_IJLi3EEEENST_IJLi4EEEENST_IJLi5EEEENST_IJLi6EEEENST_IJLi7EEEENST_IJLi8EEEENST_IJLi9EEEENST_IJLi10EEEENST_IJLi11ELi13ELi15ELi17EEEENST_IJLi12ELi14ELi16ELi18EEEENST_IJLi19EEEENST_IJLi20EEEENST_IJLi22EEEENST_IJLi21EEEEEEENS5_IJNST_IJLi1ELi2ELi3ELi4ELi5EEEES10_S11_S12_S13_S14_NST_IJLi11EEEENST_IJLi12ELi13EEEENST_IJLi14ELi15EEEENST_IJLi16ELi17EEEENST_IJLi18EEEES17_S18_S1A_S19_NST_IJLi23ELi24EEEENST_IJLi25EEEEEEENST_IJLi23ELi25ELi24EEEElEENSB_INS5_IJSR_SP_SP_SR_SG_EEENS5_IJSU_SV_SW_SY_SX_EEENS5_IJNST_IJLi1ELi2EEEESX_SY_NST_IJLi5ELi6EEEES11_EEENST_IJLi5ELi7ELi6EEEElEENSB_INS5_IJSK_SP_SP_EEENS5_IJSU_SV_SW_EEENS5_IJS1P_SX_SY_EEENST_IJLi3ELi4EEEElEELi128ELi128ELi16ELi1ELi4ELi4ELi1ENST_IJLi8ELi2EEEES1Z_NST_IJLi8ELi1ELi1ELi1EEEENST_IJLi2ELi1ELi128ELi1EEEENST_IJLi1ELi2ELi0ELi3EEEES22_NST_IJLi4ELi1ELi1ELi1EEEES22_NST_IJLi1ELi1ELi1ELi1EEEES20_S21_S22_S22_S23_S22_S24_NST_IJLi0ELi1ELi2ELi3ELi4ELi5EEEELi5ELi4EEEfNS5_IJPKfEEEfS8_S8_S9_NSB_INS5_IJSE_SG_SI_SI_SI_SG_SG_SK_SK_SK_SG_SN_SN_SP_SP_SR_SG_SG_NSQ_INS5_IJiNS_17integral_constantIiLi128EEEEEELb0EEENSF_INS2A_IiLi1EEEEEEEENS5_IJSU_SV_SW_SX_SY_SZ_S10_S11_S12_S13_S14_S15_S16_S17_S18_S19_S1A_NST_IJLi23EEEES1J_NST_IJLi24EEEEEEENS5_IJS1C_S10_S11_S12_S13_S14_S1D_S1E_S1F_S1G_S1H_S17_S18_S1A_S19_S1I_S1J_NST_IJLi26EEEENST_IJLi27ELi28EEEENST_IJLi29EEEEEEENST_IJLi26ELi27ELi28ELi29EEEElEENSB_INS5_IJSR_SP_SP_SR_SG_SG_S2D_S2F_EEENS5_IJSU_SV_SW_SY_SX_SZ_S11_S10_EEENS5_IJS1P_SX_SY_S1Q_S11_S12_NST_IJLi9ELi10EEEES1D_EEENST_IJLi8ELi9ELi10ELi11EEEElEENS5_IJNSB_INS5_IJSK_SP_SP_NSQ_INS5_IJiNS2A_IiLi2EEENS2A_IiLi64EEEEEELb0EEES2Z_EEENS5_IJSU_SV_SW_SX_SY_EEENS5_IJS1P_SX_SY_NST_IJLi5ELi6ELi7EEEENST_IJLi8ELi9ELi10EEEEEEENST_IJLi5ELi6ELi7ELi8ELi9ELi10EEEElEEEEES36_NS_31BlockToCTileMap_M00_N00_M01_N01ILi128ELi128ES1Y_Lb0EEENS1_30ComputePtrOffsetOfStridedBatchILi1ELi1ELi1EvEELb1ELb1EEEvPKT0_S3E_T1_PT2_T3_T4_T5_iT6_T7_T8_T9_T10_T11_: ; @_ZN2ck16tensor_operation6device12_GLOBAL__N_137kernel_grouped_conv_fwd_dl_multiple_dINS_32GridwiseGemmDlMultipleD_km_kn_mnILi256EffNS_5TupleIJfEEEfNS0_12element_wise11PassThroughES8_NS7_7AddReluELNS_25InMemoryDataOperationEnumE0ENS_16TensorDescriptorINS5_IJNS_5EmbedINS5_IJiiiiiEEESD_Lb0EEENS_11PassThroughIiEENS_3PadIiiiLb0EEESI_SI_SG_SG_NSC_INS5_IJiiEEESJ_Lb0EEESK_SK_SG_NS_23Merge_v2_magic_divisionINS5_IJiiiiEEEEESN_NS_8RightPadIiiLb0EEESP_NS_7UnMergeISJ_Lb0EEESG_EEENS5_IJNS_8SequenceIJLi0EEEENST_IJLi1EEEENST_IJLi2EEEENST_IJLi3EEEENST_IJLi4EEEENST_IJLi5EEEENST_IJLi6EEEENST_IJLi7EEEENST_IJLi8EEEENST_IJLi9EEEENST_IJLi10EEEENST_IJLi11ELi13ELi15ELi17EEEENST_IJLi12ELi14ELi16ELi18EEEENST_IJLi19EEEENST_IJLi20EEEENST_IJLi22EEEENST_IJLi21EEEEEEENS5_IJNST_IJLi1ELi2ELi3ELi4ELi5EEEES10_S11_S12_S13_S14_NST_IJLi11EEEENST_IJLi12ELi13EEEENST_IJLi14ELi15EEEENST_IJLi16ELi17EEEENST_IJLi18EEEES17_S18_S1A_S19_NST_IJLi23ELi24EEEENST_IJLi25EEEEEEENST_IJLi23ELi25ELi24EEEElEENSB_INS5_IJSR_SP_SP_SR_SG_EEENS5_IJSU_SV_SW_SY_SX_EEENS5_IJNST_IJLi1ELi2EEEESX_SY_NST_IJLi5ELi6EEEES11_EEENST_IJLi5ELi7ELi6EEEElEENSB_INS5_IJSK_SP_SP_EEENS5_IJSU_SV_SW_EEENS5_IJS1P_SX_SY_EEENST_IJLi3ELi4EEEElEELi128ELi128ELi16ELi1ELi4ELi4ELi1ENST_IJLi8ELi2EEEES1Z_NST_IJLi8ELi1ELi1ELi1EEEENST_IJLi2ELi1ELi128ELi1EEEENST_IJLi1ELi2ELi0ELi3EEEES22_NST_IJLi4ELi1ELi1ELi1EEEES22_NST_IJLi1ELi1ELi1ELi1EEEES20_S21_S22_S22_S23_S22_S24_NST_IJLi0ELi1ELi2ELi3ELi4ELi5EEEELi5ELi4EEEfNS5_IJPKfEEEfS8_S8_S9_NSB_INS5_IJSE_SG_SI_SI_SI_SG_SG_SK_SK_SK_SG_SN_SN_SP_SP_SR_SG_SG_NSQ_INS5_IJiNS_17integral_constantIiLi128EEEEEELb0EEENSF_INS2A_IiLi1EEEEEEEENS5_IJSU_SV_SW_SX_SY_SZ_S10_S11_S12_S13_S14_S15_S16_S17_S18_S19_S1A_NST_IJLi23EEEES1J_NST_IJLi24EEEEEEENS5_IJS1C_S10_S11_S12_S13_S14_S1D_S1E_S1F_S1G_S1H_S17_S18_S1A_S19_S1I_S1J_NST_IJLi26EEEENST_IJLi27ELi28EEEENST_IJLi29EEEEEEENST_IJLi26ELi27ELi28ELi29EEEElEENSB_INS5_IJSR_SP_SP_SR_SG_SG_S2D_S2F_EEENS5_IJSU_SV_SW_SY_SX_SZ_S11_S10_EEENS5_IJS1P_SX_SY_S1Q_S11_S12_NST_IJLi9ELi10EEEES1D_EEENST_IJLi8ELi9ELi10ELi11EEEElEENS5_IJNSB_INS5_IJSK_SP_SP_NSQ_INS5_IJiNS2A_IiLi2EEENS2A_IiLi64EEEEEELb0EEES2Z_EEENS5_IJSU_SV_SW_SX_SY_EEENS5_IJS1P_SX_SY_NST_IJLi5ELi6ELi7EEEENST_IJLi8ELi9ELi10EEEEEEENST_IJLi5ELi6ELi7ELi8ELi9ELi10EEEElEEEEES36_NS_31BlockToCTileMap_M00_N00_M01_N01ILi128ELi128ES1Y_Lb0EEENS1_30ComputePtrOffsetOfStridedBatchILi1ELi1ELi1EvEELb1ELb1EEEvPKT0_S3E_T1_PT2_T3_T4_T5_iT6_T7_T8_T9_T10_T11_
; %bb.0:
	s_add_u32 flat_scratch_lo, s6, s9
	s_mov_b32 s12, s8
	s_load_dwordx8 s[24:31], s[4:5], 0x28
	s_load_dwordx8 s[16:23], s[4:5], 0x0
	s_load_dword s8, s[4:5], 0x24
	s_addc_u32 flat_scratch_hi, s7, 0
	s_add_u32 s0, s0, s9
	s_addc_u32 s1, s1, 0
	s_waitcnt lgkmcnt(0)
	v_mov_b32_e32 v1, s24
	buffer_store_dword v1, off, s[0:3], 0
	v_mov_b32_e32 v1, s25
	buffer_store_dword v1, off, s[0:3], 0 offset:4
	v_mov_b32_e32 v1, s26
	buffer_store_dword v1, off, s[0:3], 0 offset:8
	v_mov_b32_e32 v1, s27
	s_load_dwordx8 s[36:43], s[4:5], 0x48
	buffer_store_dword v1, off, s[0:3], 0 offset:12
	v_mov_b32_e32 v1, s28
	buffer_store_dword v1, off, s[0:3], 0 offset:16
	v_mov_b32_e32 v1, s29
	;; [unrolled: 2-line block ×4, first 2 shown]
	buffer_store_dword v1, off, s[0:3], 0 offset:28
	s_waitcnt lgkmcnt(0)
	v_mov_b32_e32 v1, s36
	buffer_store_dword v1, off, s[0:3], 0 offset:32
	v_mov_b32_e32 v1, s37
	buffer_store_dword v1, off, s[0:3], 0 offset:36
	;; [unrolled: 2-line block ×8, first 2 shown]
	s_load_dwordx8 s[24:31], s[4:5], 0x68
	s_load_dwordx8 s[36:43], s[4:5], 0x88
	;; [unrolled: 1-line block ×8, first 2 shown]
	s_waitcnt lgkmcnt(0)
	v_mov_b32_e32 v1, s83
	buffer_store_dword v1, off, s[0:3], 0 offset:316
	v_mov_b32_e32 v1, s82
	buffer_store_dword v1, off, s[0:3], 0 offset:312
	v_mov_b32_e32 v1, s81
	buffer_store_dword v1, off, s[0:3], 0 offset:308
	v_mov_b32_e32 v1, s80
	buffer_store_dword v1, off, s[0:3], 0 offset:304
	v_mov_b32_e32 v1, s79
	buffer_store_dword v1, off, s[0:3], 0 offset:300
	v_mov_b32_e32 v1, s78
	buffer_store_dword v1, off, s[0:3], 0 offset:296
	v_mov_b32_e32 v1, s77
	buffer_store_dword v1, off, s[0:3], 0 offset:292
	v_mov_b32_e32 v1, s76
	buffer_store_dword v1, off, s[0:3], 0 offset:288
	v_mov_b32_e32 v1, s91
	buffer_store_dword v1, off, s[0:3], 0 offset:284
	v_mov_b32_e32 v1, s90
	buffer_store_dword v1, off, s[0:3], 0 offset:280
	v_mov_b32_e32 v1, s89
	buffer_store_dword v1, off, s[0:3], 0 offset:276
	v_mov_b32_e32 v1, s88
	buffer_store_dword v1, off, s[0:3], 0 offset:272
	v_mov_b32_e32 v1, s87
	buffer_store_dword v1, off, s[0:3], 0 offset:268
	v_mov_b32_e32 v1, s86
	buffer_store_dword v1, off, s[0:3], 0 offset:264
	v_mov_b32_e32 v1, s85
	buffer_store_dword v1, off, s[0:3], 0 offset:260
	v_mov_b32_e32 v1, s84
	buffer_store_dword v1, off, s[0:3], 0 offset:256
	v_mov_b32_e32 v1, s75
	buffer_store_dword v1, off, s[0:3], 0 offset:252
	v_mov_b32_e32 v1, s74
	buffer_store_dword v1, off, s[0:3], 0 offset:248
	v_mov_b32_e32 v1, s73
	buffer_store_dword v1, off, s[0:3], 0 offset:244
	v_mov_b32_e32 v1, s72
	buffer_store_dword v1, off, s[0:3], 0 offset:240
	v_mov_b32_e32 v1, s71
	buffer_store_dword v1, off, s[0:3], 0 offset:236
	v_mov_b32_e32 v1, s70
	buffer_store_dword v1, off, s[0:3], 0 offset:232
	v_mov_b32_e32 v1, s69
	buffer_store_dword v1, off, s[0:3], 0 offset:228
	v_mov_b32_e32 v1, s68
	buffer_store_dword v1, off, s[0:3], 0 offset:224
	v_mov_b32_e32 v1, s67
	buffer_store_dword v1, off, s[0:3], 0 offset:220
	v_mov_b32_e32 v1, s66
	buffer_store_dword v1, off, s[0:3], 0 offset:216
	v_mov_b32_e32 v1, s65
	buffer_store_dword v1, off, s[0:3], 0 offset:212
	v_mov_b32_e32 v1, s64
	buffer_store_dword v1, off, s[0:3], 0 offset:208
	v_mov_b32_e32 v1, s63
	buffer_store_dword v1, off, s[0:3], 0 offset:204
	v_mov_b32_e32 v1, s62
	buffer_store_dword v1, off, s[0:3], 0 offset:200
	v_mov_b32_e32 v1, s61
	buffer_store_dword v1, off, s[0:3], 0 offset:196
	v_mov_b32_e32 v1, s60
	buffer_store_dword v1, off, s[0:3], 0 offset:192
	v_mov_b32_e32 v1, s59
	buffer_store_dword v1, off, s[0:3], 0 offset:188
	v_mov_b32_e32 v1, s58
	buffer_store_dword v1, off, s[0:3], 0 offset:184
	v_mov_b32_e32 v1, s57
	buffer_store_dword v1, off, s[0:3], 0 offset:180
	v_mov_b32_e32 v1, s56
	buffer_store_dword v1, off, s[0:3], 0 offset:176
	v_mov_b32_e32 v1, s55
	buffer_store_dword v1, off, s[0:3], 0 offset:172
	v_mov_b32_e32 v1, s54
	buffer_store_dword v1, off, s[0:3], 0 offset:168
	v_mov_b32_e32 v1, s53
	buffer_store_dword v1, off, s[0:3], 0 offset:164
	v_mov_b32_e32 v1, s52
	buffer_store_dword v1, off, s[0:3], 0 offset:160
	v_mov_b32_e32 v1, s51
	buffer_store_dword v1, off, s[0:3], 0 offset:156
	v_mov_b32_e32 v1, s50
	buffer_store_dword v1, off, s[0:3], 0 offset:152
	v_mov_b32_e32 v1, s49
	buffer_store_dword v1, off, s[0:3], 0 offset:148
	v_mov_b32_e32 v1, s48
	buffer_store_dword v1, off, s[0:3], 0 offset:144
	v_mov_b32_e32 v1, s47
	buffer_store_dword v1, off, s[0:3], 0 offset:140
	v_mov_b32_e32 v1, s46
	buffer_store_dword v1, off, s[0:3], 0 offset:136
	v_mov_b32_e32 v1, s45
	buffer_store_dword v1, off, s[0:3], 0 offset:132
	v_mov_b32_e32 v1, s44
	buffer_store_dword v1, off, s[0:3], 0 offset:128
	v_mov_b32_e32 v1, s43
	buffer_store_dword v1, off, s[0:3], 0 offset:124
	v_mov_b32_e32 v1, s42
	buffer_store_dword v1, off, s[0:3], 0 offset:120
	v_mov_b32_e32 v1, s41
	buffer_store_dword v1, off, s[0:3], 0 offset:116
	v_mov_b32_e32 v1, s40
	buffer_store_dword v1, off, s[0:3], 0 offset:112
	v_mov_b32_e32 v1, s39
	buffer_store_dword v1, off, s[0:3], 0 offset:108
	v_mov_b32_e32 v1, s38
	buffer_store_dword v1, off, s[0:3], 0 offset:104
	v_mov_b32_e32 v1, s37
	buffer_store_dword v1, off, s[0:3], 0 offset:100
	v_mov_b32_e32 v1, s36
	buffer_store_dword v1, off, s[0:3], 0 offset:96
	v_mov_b32_e32 v1, s31
	buffer_store_dword v1, off, s[0:3], 0 offset:92
	v_mov_b32_e32 v1, s30
	buffer_store_dword v1, off, s[0:3], 0 offset:88
	v_mov_b32_e32 v1, s29
	buffer_store_dword v1, off, s[0:3], 0 offset:84
	v_mov_b32_e32 v1, s28
	s_load_dwordx8 s[36:43], s[4:5], 0x168
	buffer_store_dword v1, off, s[0:3], 0 offset:80
	v_mov_b32_e32 v1, s27
	buffer_store_dword v1, off, s[0:3], 0 offset:76
	v_mov_b32_e32 v1, s26
	;; [unrolled: 2-line block ×4, first 2 shown]
	buffer_store_dword v1, off, s[0:3], 0 offset:64
	s_waitcnt lgkmcnt(0)
	v_mov_b32_e32 v1, s39
	buffer_store_dword v1, off, s[0:3], 0 offset:332
	v_mov_b32_e32 v1, s38
	buffer_store_dword v1, off, s[0:3], 0 offset:328
	v_mov_b32_e32 v1, s37
	s_load_dwordx8 s[24:31], s[4:5], 0x188
	buffer_store_dword v1, off, s[0:3], 0 offset:324
	v_mov_b32_e32 v1, s36
	buffer_store_dword v1, off, s[0:3], 0 offset:320
	v_mov_b32_e32 v1, s43
	;; [unrolled: 2-line block ×5, first 2 shown]
	buffer_store_dword v1, off, s[0:3], 0 offset:336
	s_waitcnt lgkmcnt(0)
	v_mov_b32_e32 v1, s27
	buffer_store_dword v1, off, s[0:3], 0 offset:364
	v_mov_b32_e32 v1, s26
	buffer_store_dword v1, off, s[0:3], 0 offset:360
	;; [unrolled: 2-line block ×3, first 2 shown]
	v_mov_b32_e32 v1, s24
	s_load_dwordx8 s[36:43], s[4:5], 0x1a8
	buffer_store_dword v1, off, s[0:3], 0 offset:352
	v_mov_b32_e32 v1, s31
	buffer_store_dword v1, off, s[0:3], 0 offset:380
	v_mov_b32_e32 v1, s30
	;; [unrolled: 2-line block ×4, first 2 shown]
	buffer_store_dword v1, off, s[0:3], 0 offset:368
	s_waitcnt lgkmcnt(0)
	v_mov_b32_e32 v1, s39
	buffer_store_dword v1, off, s[0:3], 0 offset:396
	v_mov_b32_e32 v1, s38
	buffer_store_dword v1, off, s[0:3], 0 offset:392
	;; [unrolled: 2-line block ×5, first 2 shown]
	v_mov_b32_e32 v1, s42
	s_load_dwordx8 s[24:31], s[4:5], 0x208
	buffer_store_dword v1, off, s[0:3], 0 offset:408
	v_mov_b32_e32 v1, s41
	buffer_store_dword v1, off, s[0:3], 0 offset:404
	v_mov_b32_e32 v1, s40
	buffer_store_dword v1, off, s[0:3], 0 offset:400
	s_load_dwordx8 s[36:43], s[4:5], 0x1c8
	s_load_dwordx8 s[44:51], s[4:5], 0x1e8
	s_waitcnt lgkmcnt(0)
	v_mov_b32_e32 v1, s27
	buffer_store_dword v1, off, s[0:3], 0 offset:492
	v_mov_b32_e32 v1, s26
	buffer_store_dword v1, off, s[0:3], 0 offset:488
	;; [unrolled: 2-line block ×15, first 2 shown]
	v_mov_b32_e32 v1, s40
	s_load_dwordx8 s[40:47], s[4:5], 0x248
	buffer_store_dword v1, off, s[0:3], 0 offset:432
	v_mov_b32_e32 v1, s39
	buffer_store_dword v1, off, s[0:3], 0 offset:428
	v_mov_b32_e32 v1, s38
	;; [unrolled: 2-line block ×4, first 2 shown]
	buffer_store_dword v1, off, s[0:3], 0 offset:416
	s_waitcnt lgkmcnt(0)
	v_mov_b32_e32 v1, s47
	buffer_store_dword v1, off, s[0:3], 0 offset:572
	v_mov_b32_e32 v1, s46
	buffer_store_dword v1, off, s[0:3], 0 offset:568
	v_mov_b32_e32 v1, s45
	s_load_dwordx8 s[48:55], s[4:5], 0x228
	buffer_store_dword v1, off, s[0:3], 0 offset:564
	v_mov_b32_e32 v1, s44
	buffer_store_dword v1, off, s[0:3], 0 offset:560
	v_mov_b32_e32 v1, s43
	;; [unrolled: 2-line block ×5, first 2 shown]
	buffer_store_dword v1, off, s[0:3], 0 offset:544
	s_waitcnt lgkmcnt(0)
	v_mov_b32_e32 v1, s55
	buffer_store_dword v1, off, s[0:3], 0 offset:540
	v_mov_b32_e32 v1, s54
	buffer_store_dword v1, off, s[0:3], 0 offset:536
	;; [unrolled: 2-line block ×6, first 2 shown]
	v_mov_b32_e32 v1, s49
	s_mov_b64 s[6:7], src_private_base
	buffer_store_dword v1, off, s[0:3], 0 offset:516
	v_mov_b32_e32 v1, s48
	buffer_store_dword v1, off, s[0:3], 0 offset:512
	v_mov_b32_e32 v1, s31
	s_abs_i32 s6, s8
	buffer_store_dword v1, off, s[0:3], 0 offset:508
	v_mov_b32_e32 v1, s30
	s_load_dwordx4 s[52:55], s[4:5], 0x2c8
	v_cvt_f32_u32_e32 v2, s6
	buffer_store_dword v1, off, s[0:3], 0 offset:504
	v_mov_b32_e32 v1, s29
	buffer_store_dword v1, off, s[0:3], 0 offset:500
	v_mov_b32_e32 v1, s28
	buffer_store_dword v1, off, s[0:3], 0 offset:496
	s_load_dwordx8 s[24:31], s[4:5], 0x268
	s_load_dwordx8 s[36:43], s[4:5], 0x288
	;; [unrolled: 1-line block ×3, first 2 shown]
	s_load_dword s9, s[4:5], 0x300
	v_rcp_iflag_f32_e32 v2, v2
	s_waitcnt lgkmcnt(0)
	v_mov_b32_e32 v1, s55
	buffer_store_dword v1, off, s[0:3], 0 offset:684
	v_mov_b32_e32 v1, s54
	buffer_store_dword v1, off, s[0:3], 0 offset:680
	;; [unrolled: 2-line block ×3, first 2 shown]
	v_mov_b32_e32 v1, s52
	v_mul_f32_e32 v2, 0x4f7ffffe, v2
	buffer_store_dword v1, off, s[0:3], 0 offset:672
	v_mov_b32_e32 v1, s51
	v_cvt_u32_f32_e32 v2, v2
	buffer_store_dword v1, off, s[0:3], 0 offset:668
	v_mov_b32_e32 v1, s50
	buffer_store_dword v1, off, s[0:3], 0 offset:664
	v_mov_b32_e32 v1, s49
	buffer_store_dword v1, off, s[0:3], 0 offset:660
	v_mov_b32_e32 v1, s48
	buffer_store_dword v1, off, s[0:3], 0 offset:656
	v_mov_b32_e32 v1, s47
	s_sub_i32 s10, 0, s6
	v_readfirstlane_b32 s11, v2
	buffer_store_dword v1, off, s[0:3], 0 offset:652
	v_mov_b32_e32 v1, s46
	s_mul_i32 s10, s10, s11
	buffer_store_dword v1, off, s[0:3], 0 offset:648
	v_mov_b32_e32 v1, s45
	s_mul_hi_u32 s10, s11, s10
	buffer_store_dword v1, off, s[0:3], 0 offset:644
	v_mov_b32_e32 v1, s44
	s_xor_b32 s8, s9, s8
	s_abs_i32 s9, s9
	s_add_i32 s11, s11, s10
	buffer_store_dword v1, off, s[0:3], 0 offset:640
	v_mov_b32_e32 v1, s43
	s_mul_hi_u32 s10, s9, s11
	buffer_store_dword v1, off, s[0:3], 0 offset:636
	v_mov_b32_e32 v1, s42
	s_mul_i32 s11, s10, s6
	buffer_store_dword v1, off, s[0:3], 0 offset:632
	v_mov_b32_e32 v1, s41
	s_sub_i32 s9, s9, s11
	buffer_store_dword v1, off, s[0:3], 0 offset:628
	v_mov_b32_e32 v1, s40
	s_ashr_i32 s8, s8, 31
	s_add_i32 s11, s10, 1
	s_sub_i32 s13, s9, s6
	buffer_store_dword v1, off, s[0:3], 0 offset:624
	v_mov_b32_e32 v1, s39
	s_cmp_ge_u32 s9, s6
	buffer_store_dword v1, off, s[0:3], 0 offset:620
	v_mov_b32_e32 v1, s38
	s_cselect_b32 s10, s11, s10
	buffer_store_dword v1, off, s[0:3], 0 offset:616
	v_mov_b32_e32 v1, s37
	s_cselect_b32 s9, s13, s9
	s_add_i32 s11, s10, 1
	buffer_store_dword v1, off, s[0:3], 0 offset:612
	v_mov_b32_e32 v1, s36
	s_cmp_ge_u32 s9, s6
	buffer_store_dword v1, off, s[0:3], 0 offset:608
	v_mov_b32_e32 v1, s31
	s_cselect_b32 s6, s11, s10
	buffer_store_dword v1, off, s[0:3], 0 offset:604
	v_mov_b32_e32 v1, s30
	s_xor_b32 s6, s6, s8
	buffer_store_dword v1, off, s[0:3], 0 offset:600
	v_mov_b32_e32 v1, s29
	s_sub_i32 s6, s6, s8
	buffer_store_dword v1, off, s[0:3], 0 offset:596
	v_mov_b32_e32 v1, s28
	s_abs_i32 s8, s6
	buffer_store_dword v1, off, s[0:3], 0 offset:592
	v_mov_b32_e32 v1, s27
	v_cvt_f32_u32_e32 v2, s8
	buffer_store_dword v1, off, s[0:3], 0 offset:588
	v_mov_b32_e32 v1, s26
	buffer_store_dword v1, off, s[0:3], 0 offset:584
	v_mov_b32_e32 v1, s25
	;; [unrolled: 2-line block ×3, first 2 shown]
	buffer_store_dword v1, off, s[0:3], 0 offset:576
	v_rcp_iflag_f32_e32 v1, v2
	s_sub_i32 s11, 0, s8
	s_abs_i32 s10, s12
	s_xor_b32 s6, s12, s6
	v_mul_f32_e32 v1, 0x4f7ffffe, v1
	v_cvt_u32_f32_e32 v1, v1
	s_ashr_i32 s6, s6, 31
	s_load_dwordx8 s[24:31], s[4:5], 0x2d8
	s_mov_b32 s9, 0
	v_readfirstlane_b32 s13, v1
	s_mul_i32 s11, s11, s13
	s_mul_hi_u32 s11, s13, s11
	s_add_i32 s13, s13, s11
	s_mul_hi_u32 s11, s10, s13
	s_mul_i32 s13, s11, s8
	s_sub_i32 s10, s10, s13
	s_add_i32 s13, s11, 1
	s_sub_i32 s14, s10, s8
	s_cmp_ge_u32 s10, s8
	s_cselect_b32 s11, s13, s11
	s_cselect_b32 s10, s14, s10
	s_add_i32 s13, s11, 1
	s_cmp_ge_u32 s10, s8
	s_cselect_b32 s8, s13, s11
	s_xor_b32 s8, s8, s6
	s_sub_i32 s6, s8, s6
	s_ashr_i32 s13, s6, 31
	s_waitcnt lgkmcnt(0)
	s_mul_i32 s8, s24, s13
	s_mul_hi_u32 s10, s24, s6
	s_add_i32 s8, s10, s8
	s_mul_i32 s10, s25, s6
	s_add_i32 s33, s8, s10
	s_mul_i32 s8, s24, s6
	s_mul_i32 s10, s26, s13
	;; [unrolled: 1-line block ×4, first 2 shown]
	s_mul_hi_u32 s24, s28, s6
	s_mul_hi_u32 s11, s26, s6
	s_mul_hi_u32 s15, s30, s6
	s_add_i32 s13, s24, s13
	s_mul_i32 s24, s29, s6
	s_add_i32 s10, s11, s10
	s_mul_i32 s11, s27, s6
	;; [unrolled: 2-line block ×5, first 2 shown]
	s_add_i32 s26, s14, s15
	s_lshl_b64 s[24:25], s[24:25], 2
	s_mul_i32 s14, s30, s6
	s_add_u32 s6, s20, s24
	s_addc_u32 s13, s21, s25
	s_lshl_b32 s21, s33, 2
	s_mov_b32 s20, s9
	s_lshl_b64 s[24:25], s[8:9], 2
	s_or_b64 s[20:21], s[20:21], s[24:25]
	s_mov_b32 s11, s9
	s_add_u32 s20, s16, s20
	s_addc_u32 s21, s17, s21
	s_lshl_b32 s17, s27, 2
	s_mov_b32 s16, s9
	s_lshl_b64 s[10:11], s[10:11], 2
	s_or_b64 s[10:11], s[16:17], s[10:11]
	s_mov_b32 s15, s9
	s_add_u32 s16, s18, s10
	s_addc_u32 s17, s19, s11
	s_lshl_b32 s11, s26, 2
	s_mov_b32 s10, s9
	s_lshl_b64 s[8:9], s[14:15], 2
	s_or_b64 s[8:9], s[10:11], s[8:9]
	s_add_u32 s10, s22, s8
	s_addc_u32 s11, s23, s9
	s_add_u32 s8, s4, 0x300
	s_addc_u32 s9, s5, 0
	v_mov_b32_e32 v31, v0
	v_mov_b32_e32 v0, s20
	v_mov_b32_e32 v1, s21
	v_mov_b32_e32 v2, s16
	v_mov_b32_e32 v3, s17
	v_mov_b32_e32 v4, s6
	v_mov_b32_e32 v5, s13
	v_mov_b32_e32 v6, s10
	v_mov_b32_e32 v7, s11
	v_mov_b32_e32 v8, 0
	v_mov_b32_e32 v9, s7
	v_mov_b32_e32 v10, 0x140
	v_mov_b32_e32 v11, s7
	v_mov_b32_e32 v12, 0x1a0
	v_mov_b32_e32 v13, s7
	v_mov_b32_e32 v14, 0x1f0
	v_mov_b32_e32 v15, s7
	v_mov_b32_e32 v16, 0x240
	v_mov_b32_e32 v17, s7
	s_mov_b32 s32, 0xb000
	s_getpc_b64 s[4:5]
	s_add_u32 s4, s4, _ZN2ck32GridwiseGemmDlMultipleD_km_kn_mnILi256EffNS_5TupleIJfEEEfNS_16tensor_operation12element_wise11PassThroughES5_NS4_7AddReluELNS_25InMemoryDataOperationEnumE0ENS_16TensorDescriptorINS1_IJNS_5EmbedINS1_IJiiiiiEEESA_Lb0EEENS_11PassThroughIiEENS_3PadIiiiLb0EEESF_SF_SD_SD_NS9_INS1_IJiiEEESG_Lb0EEESH_SH_SD_NS_23Merge_v2_magic_divisionINS1_IJiiiiEEEEESK_NS_8RightPadIiiLb0EEESM_NS_7UnMergeISG_Lb0EEESD_EEENS1_IJNS_8SequenceIJLi0EEEENSQ_IJLi1EEEENSQ_IJLi2EEEENSQ_IJLi3EEEENSQ_IJLi4EEEENSQ_IJLi5EEEENSQ_IJLi6EEEENSQ_IJLi7EEEENSQ_IJLi8EEEENSQ_IJLi9EEEENSQ_IJLi10EEEENSQ_IJLi11ELi13ELi15ELi17EEEENSQ_IJLi12ELi14ELi16ELi18EEEENSQ_IJLi19EEEENSQ_IJLi20EEEENSQ_IJLi22EEEENSQ_IJLi21EEEEEEENS1_IJNSQ_IJLi1ELi2ELi3ELi4ELi5EEEESX_SY_SZ_S10_S11_NSQ_IJLi11EEEENSQ_IJLi12ELi13EEEENSQ_IJLi14ELi15EEEENSQ_IJLi16ELi17EEEENSQ_IJLi18EEEES14_S15_S17_S16_NSQ_IJLi23ELi24EEEENSQ_IJLi25EEEEEEENSQ_IJLi23ELi25ELi24EEEElEENS8_INS1_IJSO_SM_SM_SO_SD_EEENS1_IJSR_SS_ST_SV_SU_EEENS1_IJNSQ_IJLi1ELi2EEEESU_SV_NSQ_IJLi5ELi6EEEESY_EEENSQ_IJLi5ELi7ELi6EEEElEENS8_INS1_IJSH_SM_SM_EEENS1_IJSR_SS_ST_EEENS1_IJS1M_SU_SV_EEENSQ_IJLi3ELi4EEEElEELi128ELi128ELi16ELi1ELi4ELi4ELi1ENSQ_IJLi8ELi2EEEES1W_NSQ_IJLi8ELi1ELi1ELi1EEEENSQ_IJLi2ELi1ELi128ELi1EEEENSQ_IJLi1ELi2ELi0ELi3EEEES1Z_NSQ_IJLi4ELi1ELi1ELi1EEEES1Z_NSQ_IJLi1ELi1ELi1ELi1EEEES1X_S1Y_S1Z_S1Z_S20_S1Z_S21_NSQ_IJLi0ELi1ELi2ELi3ELi4ELi5EEEELi5ELi4EE3RunINS1_IJNS8_INS1_IJSH_SM_SM_NSN_INS1_IJiNS_17integral_constantIiLi2EEENS25_IiLi64EEEEEELb0EEES29_EEENS1_IJSR_SS_ST_SU_SV_EEENS1_IJS1M_SU_SV_NSQ_IJLi5ELi6ELi7EEEENSQ_IJLi8ELi9ELi10EEEEEEENSQ_IJLi5ELi6ELi7ELi8ELi9ELi10EEEElEEEEELb1ELb1ENS_31BlockToCTileMap_M00_N00_M01_N01ILi128ELi128ES1V_Lb0EEEEEvPKfS2L_NS1_IJS2L_EEEPfPvRKS5_S2Q_RKS6_RKNS8_INS1_IJSB_SD_SF_SF_SF_SD_SD_SH_SH_SH_SD_SK_SK_SM_SM_SO_SD_SD_NSN_INS1_IJiNS25_IiLi128EEEEEELb0EEENSC_INS25_IiLi1EEEEEEEENS1_IJSR_SS_ST_SU_SV_SW_SX_SY_SZ_S10_S11_S12_S13_S14_S15_S16_S17_NSQ_IJLi23EEEES1G_NSQ_IJLi24EEEEEEENS1_IJS19_SX_SY_SZ_S10_S11_S1A_S1B_S1C_S1D_S1E_S14_S15_S17_S16_S1F_S1G_NSQ_IJLi26EEEENSQ_IJLi27ELi28EEEENSQ_IJLi29EEEEEEENSQ_IJLi26ELi27ELi28ELi29EEEElEERKNS8_INS1_IJSO_SM_SM_SO_SD_SD_S2V_S2X_EEENS1_IJSR_SS_ST_SV_SU_SW_SY_SX_EEENS1_IJS1M_SU_SV_S1N_SY_SZ_NSQ_IJLi9ELi10EEEES1A_EEENSQ_IJLi8ELi9ELi10ELi11EEEElEERKT_RKS2G_RKT2_NS25_IbXT0_EEENS25_IbXT1_EEE@rel32@lo+4
	s_addc_u32 s5, s5, _ZN2ck32GridwiseGemmDlMultipleD_km_kn_mnILi256EffNS_5TupleIJfEEEfNS_16tensor_operation12element_wise11PassThroughES5_NS4_7AddReluELNS_25InMemoryDataOperationEnumE0ENS_16TensorDescriptorINS1_IJNS_5EmbedINS1_IJiiiiiEEESA_Lb0EEENS_11PassThroughIiEENS_3PadIiiiLb0EEESF_SF_SD_SD_NS9_INS1_IJiiEEESG_Lb0EEESH_SH_SD_NS_23Merge_v2_magic_divisionINS1_IJiiiiEEEEESK_NS_8RightPadIiiLb0EEESM_NS_7UnMergeISG_Lb0EEESD_EEENS1_IJNS_8SequenceIJLi0EEEENSQ_IJLi1EEEENSQ_IJLi2EEEENSQ_IJLi3EEEENSQ_IJLi4EEEENSQ_IJLi5EEEENSQ_IJLi6EEEENSQ_IJLi7EEEENSQ_IJLi8EEEENSQ_IJLi9EEEENSQ_IJLi10EEEENSQ_IJLi11ELi13ELi15ELi17EEEENSQ_IJLi12ELi14ELi16ELi18EEEENSQ_IJLi19EEEENSQ_IJLi20EEEENSQ_IJLi22EEEENSQ_IJLi21EEEEEEENS1_IJNSQ_IJLi1ELi2ELi3ELi4ELi5EEEESX_SY_SZ_S10_S11_NSQ_IJLi11EEEENSQ_IJLi12ELi13EEEENSQ_IJLi14ELi15EEEENSQ_IJLi16ELi17EEEENSQ_IJLi18EEEES14_S15_S17_S16_NSQ_IJLi23ELi24EEEENSQ_IJLi25EEEEEEENSQ_IJLi23ELi25ELi24EEEElEENS8_INS1_IJSO_SM_SM_SO_SD_EEENS1_IJSR_SS_ST_SV_SU_EEENS1_IJNSQ_IJLi1ELi2EEEESU_SV_NSQ_IJLi5ELi6EEEESY_EEENSQ_IJLi5ELi7ELi6EEEElEENS8_INS1_IJSH_SM_SM_EEENS1_IJSR_SS_ST_EEENS1_IJS1M_SU_SV_EEENSQ_IJLi3ELi4EEEElEELi128ELi128ELi16ELi1ELi4ELi4ELi1ENSQ_IJLi8ELi2EEEES1W_NSQ_IJLi8ELi1ELi1ELi1EEEENSQ_IJLi2ELi1ELi128ELi1EEEENSQ_IJLi1ELi2ELi0ELi3EEEES1Z_NSQ_IJLi4ELi1ELi1ELi1EEEES1Z_NSQ_IJLi1ELi1ELi1ELi1EEEES1X_S1Y_S1Z_S1Z_S20_S1Z_S21_NSQ_IJLi0ELi1ELi2ELi3ELi4ELi5EEEELi5ELi4EE3RunINS1_IJNS8_INS1_IJSH_SM_SM_NSN_INS1_IJiNS_17integral_constantIiLi2EEENS25_IiLi64EEEEEELb0EEES29_EEENS1_IJSR_SS_ST_SU_SV_EEENS1_IJS1M_SU_SV_NSQ_IJLi5ELi6ELi7EEEENSQ_IJLi8ELi9ELi10EEEEEEENSQ_IJLi5ELi6ELi7ELi8ELi9ELi10EEEElEEEEELb1ELb1ENS_31BlockToCTileMap_M00_N00_M01_N01ILi128ELi128ES1V_Lb0EEEEEvPKfS2L_NS1_IJS2L_EEEPfPvRKS5_S2Q_RKS6_RKNS8_INS1_IJSB_SD_SF_SF_SF_SD_SD_SH_SH_SH_SD_SK_SK_SM_SM_SO_SD_SD_NSN_INS1_IJiNS25_IiLi128EEEEEELb0EEENSC_INS25_IiLi1EEEEEEEENS1_IJSR_SS_ST_SU_SV_SW_SX_SY_SZ_S10_S11_S12_S13_S14_S15_S16_S17_NSQ_IJLi23EEEES1G_NSQ_IJLi24EEEEEEENS1_IJS19_SX_SY_SZ_S10_S11_S1A_S1B_S1C_S1D_S1E_S14_S15_S17_S16_S1F_S1G_NSQ_IJLi26EEEENSQ_IJLi27ELi28EEEENSQ_IJLi29EEEEEEENSQ_IJLi26ELi27ELi28ELi29EEEElEERKNS8_INS1_IJSO_SM_SM_SO_SD_SD_S2V_S2X_EEENS1_IJSR_SS_ST_SV_SU_SW_SY_SX_EEENS1_IJS1M_SU_SV_S1N_SY_SZ_NSQ_IJLi9ELi10EEEES1A_EEENSQ_IJLi8ELi9ELi10ELi11EEEElEERKT_RKS2G_RKT2_NS25_IbXT0_EEENS25_IbXT1_EEE@rel32@hi+12
	s_swappc_b64 s[30:31], s[4:5]
	s_endpgm
	.section	.rodata,"a",@progbits
	.p2align	6, 0x0
	.amdhsa_kernel _ZN2ck16tensor_operation6device12_GLOBAL__N_137kernel_grouped_conv_fwd_dl_multiple_dINS_32GridwiseGemmDlMultipleD_km_kn_mnILi256EffNS_5TupleIJfEEEfNS0_12element_wise11PassThroughES8_NS7_7AddReluELNS_25InMemoryDataOperationEnumE0ENS_16TensorDescriptorINS5_IJNS_5EmbedINS5_IJiiiiiEEESD_Lb0EEENS_11PassThroughIiEENS_3PadIiiiLb0EEESI_SI_SG_SG_NSC_INS5_IJiiEEESJ_Lb0EEESK_SK_SG_NS_23Merge_v2_magic_divisionINS5_IJiiiiEEEEESN_NS_8RightPadIiiLb0EEESP_NS_7UnMergeISJ_Lb0EEESG_EEENS5_IJNS_8SequenceIJLi0EEEENST_IJLi1EEEENST_IJLi2EEEENST_IJLi3EEEENST_IJLi4EEEENST_IJLi5EEEENST_IJLi6EEEENST_IJLi7EEEENST_IJLi8EEEENST_IJLi9EEEENST_IJLi10EEEENST_IJLi11ELi13ELi15ELi17EEEENST_IJLi12ELi14ELi16ELi18EEEENST_IJLi19EEEENST_IJLi20EEEENST_IJLi22EEEENST_IJLi21EEEEEEENS5_IJNST_IJLi1ELi2ELi3ELi4ELi5EEEES10_S11_S12_S13_S14_NST_IJLi11EEEENST_IJLi12ELi13EEEENST_IJLi14ELi15EEEENST_IJLi16ELi17EEEENST_IJLi18EEEES17_S18_S1A_S19_NST_IJLi23ELi24EEEENST_IJLi25EEEEEEENST_IJLi23ELi25ELi24EEEElEENSB_INS5_IJSR_SP_SP_SR_SG_EEENS5_IJSU_SV_SW_SY_SX_EEENS5_IJNST_IJLi1ELi2EEEESX_SY_NST_IJLi5ELi6EEEES11_EEENST_IJLi5ELi7ELi6EEEElEENSB_INS5_IJSK_SP_SP_EEENS5_IJSU_SV_SW_EEENS5_IJS1P_SX_SY_EEENST_IJLi3ELi4EEEElEELi128ELi128ELi16ELi1ELi4ELi4ELi1ENST_IJLi8ELi2EEEES1Z_NST_IJLi8ELi1ELi1ELi1EEEENST_IJLi2ELi1ELi128ELi1EEEENST_IJLi1ELi2ELi0ELi3EEEES22_NST_IJLi4ELi1ELi1ELi1EEEES22_NST_IJLi1ELi1ELi1ELi1EEEES20_S21_S22_S22_S23_S22_S24_NST_IJLi0ELi1ELi2ELi3ELi4ELi5EEEELi5ELi4EEEfNS5_IJPKfEEEfS8_S8_S9_NSB_INS5_IJSE_SG_SI_SI_SI_SG_SG_SK_SK_SK_SG_SN_SN_SP_SP_SR_SG_SG_NSQ_INS5_IJiNS_17integral_constantIiLi128EEEEEELb0EEENSF_INS2A_IiLi1EEEEEEEENS5_IJSU_SV_SW_SX_SY_SZ_S10_S11_S12_S13_S14_S15_S16_S17_S18_S19_S1A_NST_IJLi23EEEES1J_NST_IJLi24EEEEEEENS5_IJS1C_S10_S11_S12_S13_S14_S1D_S1E_S1F_S1G_S1H_S17_S18_S1A_S19_S1I_S1J_NST_IJLi26EEEENST_IJLi27ELi28EEEENST_IJLi29EEEEEEENST_IJLi26ELi27ELi28ELi29EEEElEENSB_INS5_IJSR_SP_SP_SR_SG_SG_S2D_S2F_EEENS5_IJSU_SV_SW_SY_SX_SZ_S11_S10_EEENS5_IJS1P_SX_SY_S1Q_S11_S12_NST_IJLi9ELi10EEEES1D_EEENST_IJLi8ELi9ELi10ELi11EEEElEENS5_IJNSB_INS5_IJSK_SP_SP_NSQ_INS5_IJiNS2A_IiLi2EEENS2A_IiLi64EEEEEELb0EEES2Z_EEENS5_IJSU_SV_SW_SX_SY_EEENS5_IJS1P_SX_SY_NST_IJLi5ELi6ELi7EEEENST_IJLi8ELi9ELi10EEEEEEENST_IJLi5ELi6ELi7ELi8ELi9ELi10EEEElEEEEES36_NS_31BlockToCTileMap_M00_N00_M01_N01ILi128ELi128ES1Y_Lb0EEENS1_30ComputePtrOffsetOfStridedBatchILi1ELi1ELi1EvEELb1ELb1EEEvPKT0_S3E_T1_PT2_T3_T4_T5_iT6_T7_T8_T9_T10_T11_
		.amdhsa_group_segment_fixed_size 32768
		.amdhsa_private_segment_fixed_size 704
		.amdhsa_kernarg_size 1024
		.amdhsa_user_sgpr_count 8
		.amdhsa_user_sgpr_private_segment_buffer 1
		.amdhsa_user_sgpr_dispatch_ptr 0
		.amdhsa_user_sgpr_queue_ptr 0
		.amdhsa_user_sgpr_kernarg_segment_ptr 1
		.amdhsa_user_sgpr_dispatch_id 0
		.amdhsa_user_sgpr_flat_scratch_init 1
		.amdhsa_user_sgpr_kernarg_preload_length 0
		.amdhsa_user_sgpr_kernarg_preload_offset 0
		.amdhsa_user_sgpr_private_segment_size 0
		.amdhsa_uses_dynamic_stack 0
		.amdhsa_system_sgpr_private_segment_wavefront_offset 1
		.amdhsa_system_sgpr_workgroup_id_x 1
		.amdhsa_system_sgpr_workgroup_id_y 0
		.amdhsa_system_sgpr_workgroup_id_z 0
		.amdhsa_system_sgpr_workgroup_info 0
		.amdhsa_system_vgpr_workitem_id 0
		.amdhsa_next_free_vgpr 145
		.amdhsa_next_free_sgpr 92
		.amdhsa_accum_offset 128
		.amdhsa_reserve_vcc 1
		.amdhsa_reserve_flat_scratch 1
		.amdhsa_float_round_mode_32 0
		.amdhsa_float_round_mode_16_64 0
		.amdhsa_float_denorm_mode_32 3
		.amdhsa_float_denorm_mode_16_64 3
		.amdhsa_dx10_clamp 1
		.amdhsa_ieee_mode 1
		.amdhsa_fp16_overflow 0
		.amdhsa_tg_split 0
		.amdhsa_exception_fp_ieee_invalid_op 0
		.amdhsa_exception_fp_denorm_src 0
		.amdhsa_exception_fp_ieee_div_zero 0
		.amdhsa_exception_fp_ieee_overflow 0
		.amdhsa_exception_fp_ieee_underflow 0
		.amdhsa_exception_fp_ieee_inexact 0
		.amdhsa_exception_int_div_zero 0
	.end_amdhsa_kernel
	.section	.text._ZN2ck16tensor_operation6device12_GLOBAL__N_137kernel_grouped_conv_fwd_dl_multiple_dINS_32GridwiseGemmDlMultipleD_km_kn_mnILi256EffNS_5TupleIJfEEEfNS0_12element_wise11PassThroughES8_NS7_7AddReluELNS_25InMemoryDataOperationEnumE0ENS_16TensorDescriptorINS5_IJNS_5EmbedINS5_IJiiiiiEEESD_Lb0EEENS_11PassThroughIiEENS_3PadIiiiLb0EEESI_SI_SG_SG_NSC_INS5_IJiiEEESJ_Lb0EEESK_SK_SG_NS_23Merge_v2_magic_divisionINS5_IJiiiiEEEEESN_NS_8RightPadIiiLb0EEESP_NS_7UnMergeISJ_Lb0EEESG_EEENS5_IJNS_8SequenceIJLi0EEEENST_IJLi1EEEENST_IJLi2EEEENST_IJLi3EEEENST_IJLi4EEEENST_IJLi5EEEENST_IJLi6EEEENST_IJLi7EEEENST_IJLi8EEEENST_IJLi9EEEENST_IJLi10EEEENST_IJLi11ELi13ELi15ELi17EEEENST_IJLi12ELi14ELi16ELi18EEEENST_IJLi19EEEENST_IJLi20EEEENST_IJLi22EEEENST_IJLi21EEEEEEENS5_IJNST_IJLi1ELi2ELi3ELi4ELi5EEEES10_S11_S12_S13_S14_NST_IJLi11EEEENST_IJLi12ELi13EEEENST_IJLi14ELi15EEEENST_IJLi16ELi17EEEENST_IJLi18EEEES17_S18_S1A_S19_NST_IJLi23ELi24EEEENST_IJLi25EEEEEEENST_IJLi23ELi25ELi24EEEElEENSB_INS5_IJSR_SP_SP_SR_SG_EEENS5_IJSU_SV_SW_SY_SX_EEENS5_IJNST_IJLi1ELi2EEEESX_SY_NST_IJLi5ELi6EEEES11_EEENST_IJLi5ELi7ELi6EEEElEENSB_INS5_IJSK_SP_SP_EEENS5_IJSU_SV_SW_EEENS5_IJS1P_SX_SY_EEENST_IJLi3ELi4EEEElEELi128ELi128ELi16ELi1ELi4ELi4ELi1ENST_IJLi8ELi2EEEES1Z_NST_IJLi8ELi1ELi1ELi1EEEENST_IJLi2ELi1ELi128ELi1EEEENST_IJLi1ELi2ELi0ELi3EEEES22_NST_IJLi4ELi1ELi1ELi1EEEES22_NST_IJLi1ELi1ELi1ELi1EEEES20_S21_S22_S22_S23_S22_S24_NST_IJLi0ELi1ELi2ELi3ELi4ELi5EEEELi5ELi4EEEfNS5_IJPKfEEEfS8_S8_S9_NSB_INS5_IJSE_SG_SI_SI_SI_SG_SG_SK_SK_SK_SG_SN_SN_SP_SP_SR_SG_SG_NSQ_INS5_IJiNS_17integral_constantIiLi128EEEEEELb0EEENSF_INS2A_IiLi1EEEEEEEENS5_IJSU_SV_SW_SX_SY_SZ_S10_S11_S12_S13_S14_S15_S16_S17_S18_S19_S1A_NST_IJLi23EEEES1J_NST_IJLi24EEEEEEENS5_IJS1C_S10_S11_S12_S13_S14_S1D_S1E_S1F_S1G_S1H_S17_S18_S1A_S19_S1I_S1J_NST_IJLi26EEEENST_IJLi27ELi28EEEENST_IJLi29EEEEEEENST_IJLi26ELi27ELi28ELi29EEEElEENSB_INS5_IJSR_SP_SP_SR_SG_SG_S2D_S2F_EEENS5_IJSU_SV_SW_SY_SX_SZ_S11_S10_EEENS5_IJS1P_SX_SY_S1Q_S11_S12_NST_IJLi9ELi10EEEES1D_EEENST_IJLi8ELi9ELi10ELi11EEEElEENS5_IJNSB_INS5_IJSK_SP_SP_NSQ_INS5_IJiNS2A_IiLi2EEENS2A_IiLi64EEEEEELb0EEES2Z_EEENS5_IJSU_SV_SW_SX_SY_EEENS5_IJS1P_SX_SY_NST_IJLi5ELi6ELi7EEEENST_IJLi8ELi9ELi10EEEEEEENST_IJLi5ELi6ELi7ELi8ELi9ELi10EEEElEEEEES36_NS_31BlockToCTileMap_M00_N00_M01_N01ILi128ELi128ES1Y_Lb0EEENS1_30ComputePtrOffsetOfStridedBatchILi1ELi1ELi1EvEELb1ELb1EEEvPKT0_S3E_T1_PT2_T3_T4_T5_iT6_T7_T8_T9_T10_T11_,"axG",@progbits,_ZN2ck16tensor_operation6device12_GLOBAL__N_137kernel_grouped_conv_fwd_dl_multiple_dINS_32GridwiseGemmDlMultipleD_km_kn_mnILi256EffNS_5TupleIJfEEEfNS0_12element_wise11PassThroughES8_NS7_7AddReluELNS_25InMemoryDataOperationEnumE0ENS_16TensorDescriptorINS5_IJNS_5EmbedINS5_IJiiiiiEEESD_Lb0EEENS_11PassThroughIiEENS_3PadIiiiLb0EEESI_SI_SG_SG_NSC_INS5_IJiiEEESJ_Lb0EEESK_SK_SG_NS_23Merge_v2_magic_divisionINS5_IJiiiiEEEEESN_NS_8RightPadIiiLb0EEESP_NS_7UnMergeISJ_Lb0EEESG_EEENS5_IJNS_8SequenceIJLi0EEEENST_IJLi1EEEENST_IJLi2EEEENST_IJLi3EEEENST_IJLi4EEEENST_IJLi5EEEENST_IJLi6EEEENST_IJLi7EEEENST_IJLi8EEEENST_IJLi9EEEENST_IJLi10EEEENST_IJLi11ELi13ELi15ELi17EEEENST_IJLi12ELi14ELi16ELi18EEEENST_IJLi19EEEENST_IJLi20EEEENST_IJLi22EEEENST_IJLi21EEEEEEENS5_IJNST_IJLi1ELi2ELi3ELi4ELi5EEEES10_S11_S12_S13_S14_NST_IJLi11EEEENST_IJLi12ELi13EEEENST_IJLi14ELi15EEEENST_IJLi16ELi17EEEENST_IJLi18EEEES17_S18_S1A_S19_NST_IJLi23ELi24EEEENST_IJLi25EEEEEEENST_IJLi23ELi25ELi24EEEElEENSB_INS5_IJSR_SP_SP_SR_SG_EEENS5_IJSU_SV_SW_SY_SX_EEENS5_IJNST_IJLi1ELi2EEEESX_SY_NST_IJLi5ELi6EEEES11_EEENST_IJLi5ELi7ELi6EEEElEENSB_INS5_IJSK_SP_SP_EEENS5_IJSU_SV_SW_EEENS5_IJS1P_SX_SY_EEENST_IJLi3ELi4EEEElEELi128ELi128ELi16ELi1ELi4ELi4ELi1ENST_IJLi8ELi2EEEES1Z_NST_IJLi8ELi1ELi1ELi1EEEENST_IJLi2ELi1ELi128ELi1EEEENST_IJLi1ELi2ELi0ELi3EEEES22_NST_IJLi4ELi1ELi1ELi1EEEES22_NST_IJLi1ELi1ELi1ELi1EEEES20_S21_S22_S22_S23_S22_S24_NST_IJLi0ELi1ELi2ELi3ELi4ELi5EEEELi5ELi4EEEfNS5_IJPKfEEEfS8_S8_S9_NSB_INS5_IJSE_SG_SI_SI_SI_SG_SG_SK_SK_SK_SG_SN_SN_SP_SP_SR_SG_SG_NSQ_INS5_IJiNS_17integral_constantIiLi128EEEEEELb0EEENSF_INS2A_IiLi1EEEEEEEENS5_IJSU_SV_SW_SX_SY_SZ_S10_S11_S12_S13_S14_S15_S16_S17_S18_S19_S1A_NST_IJLi23EEEES1J_NST_IJLi24EEEEEEENS5_IJS1C_S10_S11_S12_S13_S14_S1D_S1E_S1F_S1G_S1H_S17_S18_S1A_S19_S1I_S1J_NST_IJLi26EEEENST_IJLi27ELi28EEEENST_IJLi29EEEEEEENST_IJLi26ELi27ELi28ELi29EEEElEENSB_INS5_IJSR_SP_SP_SR_SG_SG_S2D_S2F_EEENS5_IJSU_SV_SW_SY_SX_SZ_S11_S10_EEENS5_IJS1P_SX_SY_S1Q_S11_S12_NST_IJLi9ELi10EEEES1D_EEENST_IJLi8ELi9ELi10ELi11EEEElEENS5_IJNSB_INS5_IJSK_SP_SP_NSQ_INS5_IJiNS2A_IiLi2EEENS2A_IiLi64EEEEEELb0EEES2Z_EEENS5_IJSU_SV_SW_SX_SY_EEENS5_IJS1P_SX_SY_NST_IJLi5ELi6ELi7EEEENST_IJLi8ELi9ELi10EEEEEEENST_IJLi5ELi6ELi7ELi8ELi9ELi10EEEElEEEEES36_NS_31BlockToCTileMap_M00_N00_M01_N01ILi128ELi128ES1Y_Lb0EEENS1_30ComputePtrOffsetOfStridedBatchILi1ELi1ELi1EvEELb1ELb1EEEvPKT0_S3E_T1_PT2_T3_T4_T5_iT6_T7_T8_T9_T10_T11_,comdat
.Lfunc_end14:
	.size	_ZN2ck16tensor_operation6device12_GLOBAL__N_137kernel_grouped_conv_fwd_dl_multiple_dINS_32GridwiseGemmDlMultipleD_km_kn_mnILi256EffNS_5TupleIJfEEEfNS0_12element_wise11PassThroughES8_NS7_7AddReluELNS_25InMemoryDataOperationEnumE0ENS_16TensorDescriptorINS5_IJNS_5EmbedINS5_IJiiiiiEEESD_Lb0EEENS_11PassThroughIiEENS_3PadIiiiLb0EEESI_SI_SG_SG_NSC_INS5_IJiiEEESJ_Lb0EEESK_SK_SG_NS_23Merge_v2_magic_divisionINS5_IJiiiiEEEEESN_NS_8RightPadIiiLb0EEESP_NS_7UnMergeISJ_Lb0EEESG_EEENS5_IJNS_8SequenceIJLi0EEEENST_IJLi1EEEENST_IJLi2EEEENST_IJLi3EEEENST_IJLi4EEEENST_IJLi5EEEENST_IJLi6EEEENST_IJLi7EEEENST_IJLi8EEEENST_IJLi9EEEENST_IJLi10EEEENST_IJLi11ELi13ELi15ELi17EEEENST_IJLi12ELi14ELi16ELi18EEEENST_IJLi19EEEENST_IJLi20EEEENST_IJLi22EEEENST_IJLi21EEEEEEENS5_IJNST_IJLi1ELi2ELi3ELi4ELi5EEEES10_S11_S12_S13_S14_NST_IJLi11EEEENST_IJLi12ELi13EEEENST_IJLi14ELi15EEEENST_IJLi16ELi17EEEENST_IJLi18EEEES17_S18_S1A_S19_NST_IJLi23ELi24EEEENST_IJLi25EEEEEEENST_IJLi23ELi25ELi24EEEElEENSB_INS5_IJSR_SP_SP_SR_SG_EEENS5_IJSU_SV_SW_SY_SX_EEENS5_IJNST_IJLi1ELi2EEEESX_SY_NST_IJLi5ELi6EEEES11_EEENST_IJLi5ELi7ELi6EEEElEENSB_INS5_IJSK_SP_SP_EEENS5_IJSU_SV_SW_EEENS5_IJS1P_SX_SY_EEENST_IJLi3ELi4EEEElEELi128ELi128ELi16ELi1ELi4ELi4ELi1ENST_IJLi8ELi2EEEES1Z_NST_IJLi8ELi1ELi1ELi1EEEENST_IJLi2ELi1ELi128ELi1EEEENST_IJLi1ELi2ELi0ELi3EEEES22_NST_IJLi4ELi1ELi1ELi1EEEES22_NST_IJLi1ELi1ELi1ELi1EEEES20_S21_S22_S22_S23_S22_S24_NST_IJLi0ELi1ELi2ELi3ELi4ELi5EEEELi5ELi4EEEfNS5_IJPKfEEEfS8_S8_S9_NSB_INS5_IJSE_SG_SI_SI_SI_SG_SG_SK_SK_SK_SG_SN_SN_SP_SP_SR_SG_SG_NSQ_INS5_IJiNS_17integral_constantIiLi128EEEEEELb0EEENSF_INS2A_IiLi1EEEEEEEENS5_IJSU_SV_SW_SX_SY_SZ_S10_S11_S12_S13_S14_S15_S16_S17_S18_S19_S1A_NST_IJLi23EEEES1J_NST_IJLi24EEEEEEENS5_IJS1C_S10_S11_S12_S13_S14_S1D_S1E_S1F_S1G_S1H_S17_S18_S1A_S19_S1I_S1J_NST_IJLi26EEEENST_IJLi27ELi28EEEENST_IJLi29EEEEEEENST_IJLi26ELi27ELi28ELi29EEEElEENSB_INS5_IJSR_SP_SP_SR_SG_SG_S2D_S2F_EEENS5_IJSU_SV_SW_SY_SX_SZ_S11_S10_EEENS5_IJS1P_SX_SY_S1Q_S11_S12_NST_IJLi9ELi10EEEES1D_EEENST_IJLi8ELi9ELi10ELi11EEEElEENS5_IJNSB_INS5_IJSK_SP_SP_NSQ_INS5_IJiNS2A_IiLi2EEENS2A_IiLi64EEEEEELb0EEES2Z_EEENS5_IJSU_SV_SW_SX_SY_EEENS5_IJS1P_SX_SY_NST_IJLi5ELi6ELi7EEEENST_IJLi8ELi9ELi10EEEEEEENST_IJLi5ELi6ELi7ELi8ELi9ELi10EEEElEEEEES36_NS_31BlockToCTileMap_M00_N00_M01_N01ILi128ELi128ES1Y_Lb0EEENS1_30ComputePtrOffsetOfStridedBatchILi1ELi1ELi1EvEELb1ELb1EEEvPKT0_S3E_T1_PT2_T3_T4_T5_iT6_T7_T8_T9_T10_T11_, .Lfunc_end14-_ZN2ck16tensor_operation6device12_GLOBAL__N_137kernel_grouped_conv_fwd_dl_multiple_dINS_32GridwiseGemmDlMultipleD_km_kn_mnILi256EffNS_5TupleIJfEEEfNS0_12element_wise11PassThroughES8_NS7_7AddReluELNS_25InMemoryDataOperationEnumE0ENS_16TensorDescriptorINS5_IJNS_5EmbedINS5_IJiiiiiEEESD_Lb0EEENS_11PassThroughIiEENS_3PadIiiiLb0EEESI_SI_SG_SG_NSC_INS5_IJiiEEESJ_Lb0EEESK_SK_SG_NS_23Merge_v2_magic_divisionINS5_IJiiiiEEEEESN_NS_8RightPadIiiLb0EEESP_NS_7UnMergeISJ_Lb0EEESG_EEENS5_IJNS_8SequenceIJLi0EEEENST_IJLi1EEEENST_IJLi2EEEENST_IJLi3EEEENST_IJLi4EEEENST_IJLi5EEEENST_IJLi6EEEENST_IJLi7EEEENST_IJLi8EEEENST_IJLi9EEEENST_IJLi10EEEENST_IJLi11ELi13ELi15ELi17EEEENST_IJLi12ELi14ELi16ELi18EEEENST_IJLi19EEEENST_IJLi20EEEENST_IJLi22EEEENST_IJLi21EEEEEEENS5_IJNST_IJLi1ELi2ELi3ELi4ELi5EEEES10_S11_S12_S13_S14_NST_IJLi11EEEENST_IJLi12ELi13EEEENST_IJLi14ELi15EEEENST_IJLi16ELi17EEEENST_IJLi18EEEES17_S18_S1A_S19_NST_IJLi23ELi24EEEENST_IJLi25EEEEEEENST_IJLi23ELi25ELi24EEEElEENSB_INS5_IJSR_SP_SP_SR_SG_EEENS5_IJSU_SV_SW_SY_SX_EEENS5_IJNST_IJLi1ELi2EEEESX_SY_NST_IJLi5ELi6EEEES11_EEENST_IJLi5ELi7ELi6EEEElEENSB_INS5_IJSK_SP_SP_EEENS5_IJSU_SV_SW_EEENS5_IJS1P_SX_SY_EEENST_IJLi3ELi4EEEElEELi128ELi128ELi16ELi1ELi4ELi4ELi1ENST_IJLi8ELi2EEEES1Z_NST_IJLi8ELi1ELi1ELi1EEEENST_IJLi2ELi1ELi128ELi1EEEENST_IJLi1ELi2ELi0ELi3EEEES22_NST_IJLi4ELi1ELi1ELi1EEEES22_NST_IJLi1ELi1ELi1ELi1EEEES20_S21_S22_S22_S23_S22_S24_NST_IJLi0ELi1ELi2ELi3ELi4ELi5EEEELi5ELi4EEEfNS5_IJPKfEEEfS8_S8_S9_NSB_INS5_IJSE_SG_SI_SI_SI_SG_SG_SK_SK_SK_SG_SN_SN_SP_SP_SR_SG_SG_NSQ_INS5_IJiNS_17integral_constantIiLi128EEEEEELb0EEENSF_INS2A_IiLi1EEEEEEEENS5_IJSU_SV_SW_SX_SY_SZ_S10_S11_S12_S13_S14_S15_S16_S17_S18_S19_S1A_NST_IJLi23EEEES1J_NST_IJLi24EEEEEEENS5_IJS1C_S10_S11_S12_S13_S14_S1D_S1E_S1F_S1G_S1H_S17_S18_S1A_S19_S1I_S1J_NST_IJLi26EEEENST_IJLi27ELi28EEEENST_IJLi29EEEEEEENST_IJLi26ELi27ELi28ELi29EEEElEENSB_INS5_IJSR_SP_SP_SR_SG_SG_S2D_S2F_EEENS5_IJSU_SV_SW_SY_SX_SZ_S11_S10_EEENS5_IJS1P_SX_SY_S1Q_S11_S12_NST_IJLi9ELi10EEEES1D_EEENST_IJLi8ELi9ELi10ELi11EEEElEENS5_IJNSB_INS5_IJSK_SP_SP_NSQ_INS5_IJiNS2A_IiLi2EEENS2A_IiLi64EEEEEELb0EEES2Z_EEENS5_IJSU_SV_SW_SX_SY_EEENS5_IJS1P_SX_SY_NST_IJLi5ELi6ELi7EEEENST_IJLi8ELi9ELi10EEEEEEENST_IJLi5ELi6ELi7ELi8ELi9ELi10EEEElEEEEES36_NS_31BlockToCTileMap_M00_N00_M01_N01ILi128ELi128ES1Y_Lb0EEENS1_30ComputePtrOffsetOfStridedBatchILi1ELi1ELi1EvEELb1ELb1EEEvPKT0_S3E_T1_PT2_T3_T4_T5_iT6_T7_T8_T9_T10_T11_
                                        ; -- End function
	.section	.AMDGPU.csdata,"",@progbits
; Kernel info:
; codeLenInByte = 2892
; NumSgprs: 98
; NumVgprs: 128
; NumAgprs: 17
; TotalNumVgprs: 145
; ScratchSize: 704
; MemoryBound: 0
; FloatMode: 240
; IeeeMode: 1
; LDSByteSize: 32768 bytes/workgroup (compile time only)
; SGPRBlocks: 12
; VGPRBlocks: 18
; NumSGPRsForWavesPerEU: 98
; NumVGPRsForWavesPerEU: 145
; AccumOffset: 128
; Occupancy: 2
; WaveLimiterHint : 1
; COMPUTE_PGM_RSRC2:SCRATCH_EN: 1
; COMPUTE_PGM_RSRC2:USER_SGPR: 8
; COMPUTE_PGM_RSRC2:TRAP_HANDLER: 0
; COMPUTE_PGM_RSRC2:TGID_X_EN: 1
; COMPUTE_PGM_RSRC2:TGID_Y_EN: 0
; COMPUTE_PGM_RSRC2:TGID_Z_EN: 0
; COMPUTE_PGM_RSRC2:TIDIG_COMP_CNT: 0
; COMPUTE_PGM_RSRC3_GFX90A:ACCUM_OFFSET: 31
; COMPUTE_PGM_RSRC3_GFX90A:TG_SPLIT: 0
	.text
	.p2align	2                               ; -- Begin function _ZN2ck32GridwiseGemmDlMultipleD_km_kn_mnILi256EffNS_5TupleIJfEEEfNS_16tensor_operation12element_wise11PassThroughES5_NS4_7AddReluELNS_25InMemoryDataOperationEnumE0ENS_16TensorDescriptorINS1_IJNS_5EmbedINS1_IJiiiiiEEESA_Lb0EEENS_11PassThroughIiEENS_3PadIiiiLb0EEESF_SF_SD_SD_NS9_INS1_IJiiEEESG_Lb0EEESH_SH_SD_NS_23Merge_v2_magic_divisionINS1_IJiiiiEEEEESK_NS_8RightPadIiiLb0EEESM_NS_7UnMergeISG_Lb0EEESD_EEENS1_IJNS_8SequenceIJLi0EEEENSQ_IJLi1EEEENSQ_IJLi2EEEENSQ_IJLi3EEEENSQ_IJLi4EEEENSQ_IJLi5EEEENSQ_IJLi6EEEENSQ_IJLi7EEEENSQ_IJLi8EEEENSQ_IJLi9EEEENSQ_IJLi10EEEENSQ_IJLi11ELi13ELi15ELi17EEEENSQ_IJLi12ELi14ELi16ELi18EEEENSQ_IJLi19EEEENSQ_IJLi20EEEENSQ_IJLi22EEEENSQ_IJLi21EEEEEEENS1_IJNSQ_IJLi1ELi2ELi3ELi4ELi5EEEESX_SY_SZ_S10_S11_NSQ_IJLi11EEEENSQ_IJLi12ELi13EEEENSQ_IJLi14ELi15EEEENSQ_IJLi16ELi17EEEENSQ_IJLi18EEEES14_S15_S17_S16_NSQ_IJLi23ELi24EEEENSQ_IJLi25EEEEEEENSQ_IJLi23ELi25ELi24EEEElEENS8_INS1_IJSO_SM_SM_SO_SD_EEENS1_IJSR_SS_ST_SV_SU_EEENS1_IJNSQ_IJLi1ELi2EEEESU_SV_NSQ_IJLi5ELi6EEEESY_EEENSQ_IJLi5ELi7ELi6EEEElEENS8_INS1_IJSH_SM_SM_EEENS1_IJSR_SS_ST_EEENS1_IJS1M_SU_SV_EEENSQ_IJLi3ELi4EEEElEELi128ELi128ELi16ELi1ELi4ELi4ELi1ENSQ_IJLi8ELi2EEEES1W_NSQ_IJLi8ELi1ELi1ELi1EEEENSQ_IJLi2ELi1ELi128ELi1EEEENSQ_IJLi1ELi2ELi0ELi3EEEES1Z_NSQ_IJLi4ELi1ELi1ELi1EEEES1Z_NSQ_IJLi1ELi1ELi1ELi1EEEES1X_S1Y_S1Z_S1Z_S20_S1Z_S21_NSQ_IJLi0ELi1ELi2ELi3ELi4ELi5EEEELi5ELi4EE3RunINS1_IJNS8_INS1_IJSH_SM_SM_NSN_INS1_IJiNS_17integral_constantIiLi2EEENS25_IiLi64EEEEEELb0EEES29_EEENS1_IJSR_SS_ST_SU_SV_EEENS1_IJS1M_SU_SV_NSQ_IJLi5ELi6ELi7EEEENSQ_IJLi8ELi9ELi10EEEEEEENSQ_IJLi5ELi6ELi7ELi8ELi9ELi10EEEElEEEEELb1ELb0ENS_31BlockToCTileMap_M00_N00_M01_N01ILi128ELi128ES1V_Lb0EEEEEvPKfS2L_NS1_IJS2L_EEEPfPvRKS5_S2Q_RKS6_RKNS8_INS1_IJSB_SD_SF_SF_SF_SD_SD_SH_SH_SH_SD_SK_SK_SM_SM_SO_SD_SD_NSN_INS1_IJiNS25_IiLi128EEEEEELb0EEENSC_INS25_IiLi1EEEEEEEENS1_IJSR_SS_ST_SU_SV_SW_SX_SY_SZ_S10_S11_S12_S13_S14_S15_S16_S17_NSQ_IJLi23EEEES1G_NSQ_IJLi24EEEEEEENS1_IJS19_SX_SY_SZ_S10_S11_S1A_S1B_S1C_S1D_S1E_S14_S15_S17_S16_S1F_S1G_NSQ_IJLi26EEEENSQ_IJLi27ELi28EEEENSQ_IJLi29EEEEEEENSQ_IJLi26ELi27ELi28ELi29EEEElEERKNS8_INS1_IJSO_SM_SM_SO_SD_SD_S2V_S2X_EEENS1_IJSR_SS_ST_SV_SU_SW_SY_SX_EEENS1_IJS1M_SU_SV_S1N_SY_SZ_NSQ_IJLi9ELi10EEEES1A_EEENSQ_IJLi8ELi9ELi10ELi11EEEElEERKT_RKS2G_RKT2_NS25_IbXT0_EEENS25_IbXT1_EEE
	.type	_ZN2ck32GridwiseGemmDlMultipleD_km_kn_mnILi256EffNS_5TupleIJfEEEfNS_16tensor_operation12element_wise11PassThroughES5_NS4_7AddReluELNS_25InMemoryDataOperationEnumE0ENS_16TensorDescriptorINS1_IJNS_5EmbedINS1_IJiiiiiEEESA_Lb0EEENS_11PassThroughIiEENS_3PadIiiiLb0EEESF_SF_SD_SD_NS9_INS1_IJiiEEESG_Lb0EEESH_SH_SD_NS_23Merge_v2_magic_divisionINS1_IJiiiiEEEEESK_NS_8RightPadIiiLb0EEESM_NS_7UnMergeISG_Lb0EEESD_EEENS1_IJNS_8SequenceIJLi0EEEENSQ_IJLi1EEEENSQ_IJLi2EEEENSQ_IJLi3EEEENSQ_IJLi4EEEENSQ_IJLi5EEEENSQ_IJLi6EEEENSQ_IJLi7EEEENSQ_IJLi8EEEENSQ_IJLi9EEEENSQ_IJLi10EEEENSQ_IJLi11ELi13ELi15ELi17EEEENSQ_IJLi12ELi14ELi16ELi18EEEENSQ_IJLi19EEEENSQ_IJLi20EEEENSQ_IJLi22EEEENSQ_IJLi21EEEEEEENS1_IJNSQ_IJLi1ELi2ELi3ELi4ELi5EEEESX_SY_SZ_S10_S11_NSQ_IJLi11EEEENSQ_IJLi12ELi13EEEENSQ_IJLi14ELi15EEEENSQ_IJLi16ELi17EEEENSQ_IJLi18EEEES14_S15_S17_S16_NSQ_IJLi23ELi24EEEENSQ_IJLi25EEEEEEENSQ_IJLi23ELi25ELi24EEEElEENS8_INS1_IJSO_SM_SM_SO_SD_EEENS1_IJSR_SS_ST_SV_SU_EEENS1_IJNSQ_IJLi1ELi2EEEESU_SV_NSQ_IJLi5ELi6EEEESY_EEENSQ_IJLi5ELi7ELi6EEEElEENS8_INS1_IJSH_SM_SM_EEENS1_IJSR_SS_ST_EEENS1_IJS1M_SU_SV_EEENSQ_IJLi3ELi4EEEElEELi128ELi128ELi16ELi1ELi4ELi4ELi1ENSQ_IJLi8ELi2EEEES1W_NSQ_IJLi8ELi1ELi1ELi1EEEENSQ_IJLi2ELi1ELi128ELi1EEEENSQ_IJLi1ELi2ELi0ELi3EEEES1Z_NSQ_IJLi4ELi1ELi1ELi1EEEES1Z_NSQ_IJLi1ELi1ELi1ELi1EEEES1X_S1Y_S1Z_S1Z_S20_S1Z_S21_NSQ_IJLi0ELi1ELi2ELi3ELi4ELi5EEEELi5ELi4EE3RunINS1_IJNS8_INS1_IJSH_SM_SM_NSN_INS1_IJiNS_17integral_constantIiLi2EEENS25_IiLi64EEEEEELb0EEES29_EEENS1_IJSR_SS_ST_SU_SV_EEENS1_IJS1M_SU_SV_NSQ_IJLi5ELi6ELi7EEEENSQ_IJLi8ELi9ELi10EEEEEEENSQ_IJLi5ELi6ELi7ELi8ELi9ELi10EEEElEEEEELb1ELb0ENS_31BlockToCTileMap_M00_N00_M01_N01ILi128ELi128ES1V_Lb0EEEEEvPKfS2L_NS1_IJS2L_EEEPfPvRKS5_S2Q_RKS6_RKNS8_INS1_IJSB_SD_SF_SF_SF_SD_SD_SH_SH_SH_SD_SK_SK_SM_SM_SO_SD_SD_NSN_INS1_IJiNS25_IiLi128EEEEEELb0EEENSC_INS25_IiLi1EEEEEEEENS1_IJSR_SS_ST_SU_SV_SW_SX_SY_SZ_S10_S11_S12_S13_S14_S15_S16_S17_NSQ_IJLi23EEEES1G_NSQ_IJLi24EEEEEEENS1_IJS19_SX_SY_SZ_S10_S11_S1A_S1B_S1C_S1D_S1E_S14_S15_S17_S16_S1F_S1G_NSQ_IJLi26EEEENSQ_IJLi27ELi28EEEENSQ_IJLi29EEEEEEENSQ_IJLi26ELi27ELi28ELi29EEEElEERKNS8_INS1_IJSO_SM_SM_SO_SD_SD_S2V_S2X_EEENS1_IJSR_SS_ST_SV_SU_SW_SY_SX_EEENS1_IJS1M_SU_SV_S1N_SY_SZ_NSQ_IJLi9ELi10EEEES1A_EEENSQ_IJLi8ELi9ELi10ELi11EEEElEERKT_RKS2G_RKT2_NS25_IbXT0_EEENS25_IbXT1_EEE,@function
_ZN2ck32GridwiseGemmDlMultipleD_km_kn_mnILi256EffNS_5TupleIJfEEEfNS_16tensor_operation12element_wise11PassThroughES5_NS4_7AddReluELNS_25InMemoryDataOperationEnumE0ENS_16TensorDescriptorINS1_IJNS_5EmbedINS1_IJiiiiiEEESA_Lb0EEENS_11PassThroughIiEENS_3PadIiiiLb0EEESF_SF_SD_SD_NS9_INS1_IJiiEEESG_Lb0EEESH_SH_SD_NS_23Merge_v2_magic_divisionINS1_IJiiiiEEEEESK_NS_8RightPadIiiLb0EEESM_NS_7UnMergeISG_Lb0EEESD_EEENS1_IJNS_8SequenceIJLi0EEEENSQ_IJLi1EEEENSQ_IJLi2EEEENSQ_IJLi3EEEENSQ_IJLi4EEEENSQ_IJLi5EEEENSQ_IJLi6EEEENSQ_IJLi7EEEENSQ_IJLi8EEEENSQ_IJLi9EEEENSQ_IJLi10EEEENSQ_IJLi11ELi13ELi15ELi17EEEENSQ_IJLi12ELi14ELi16ELi18EEEENSQ_IJLi19EEEENSQ_IJLi20EEEENSQ_IJLi22EEEENSQ_IJLi21EEEEEEENS1_IJNSQ_IJLi1ELi2ELi3ELi4ELi5EEEESX_SY_SZ_S10_S11_NSQ_IJLi11EEEENSQ_IJLi12ELi13EEEENSQ_IJLi14ELi15EEEENSQ_IJLi16ELi17EEEENSQ_IJLi18EEEES14_S15_S17_S16_NSQ_IJLi23ELi24EEEENSQ_IJLi25EEEEEEENSQ_IJLi23ELi25ELi24EEEElEENS8_INS1_IJSO_SM_SM_SO_SD_EEENS1_IJSR_SS_ST_SV_SU_EEENS1_IJNSQ_IJLi1ELi2EEEESU_SV_NSQ_IJLi5ELi6EEEESY_EEENSQ_IJLi5ELi7ELi6EEEElEENS8_INS1_IJSH_SM_SM_EEENS1_IJSR_SS_ST_EEENS1_IJS1M_SU_SV_EEENSQ_IJLi3ELi4EEEElEELi128ELi128ELi16ELi1ELi4ELi4ELi1ENSQ_IJLi8ELi2EEEES1W_NSQ_IJLi8ELi1ELi1ELi1EEEENSQ_IJLi2ELi1ELi128ELi1EEEENSQ_IJLi1ELi2ELi0ELi3EEEES1Z_NSQ_IJLi4ELi1ELi1ELi1EEEES1Z_NSQ_IJLi1ELi1ELi1ELi1EEEES1X_S1Y_S1Z_S1Z_S20_S1Z_S21_NSQ_IJLi0ELi1ELi2ELi3ELi4ELi5EEEELi5ELi4EE3RunINS1_IJNS8_INS1_IJSH_SM_SM_NSN_INS1_IJiNS_17integral_constantIiLi2EEENS25_IiLi64EEEEEELb0EEES29_EEENS1_IJSR_SS_ST_SU_SV_EEENS1_IJS1M_SU_SV_NSQ_IJLi5ELi6ELi7EEEENSQ_IJLi8ELi9ELi10EEEEEEENSQ_IJLi5ELi6ELi7ELi8ELi9ELi10EEEElEEEEELb1ELb0ENS_31BlockToCTileMap_M00_N00_M01_N01ILi128ELi128ES1V_Lb0EEEEEvPKfS2L_NS1_IJS2L_EEEPfPvRKS5_S2Q_RKS6_RKNS8_INS1_IJSB_SD_SF_SF_SF_SD_SD_SH_SH_SH_SD_SK_SK_SM_SM_SO_SD_SD_NSN_INS1_IJiNS25_IiLi128EEEEEELb0EEENSC_INS25_IiLi1EEEEEEEENS1_IJSR_SS_ST_SU_SV_SW_SX_SY_SZ_S10_S11_S12_S13_S14_S15_S16_S17_NSQ_IJLi23EEEES1G_NSQ_IJLi24EEEEEEENS1_IJS19_SX_SY_SZ_S10_S11_S1A_S1B_S1C_S1D_S1E_S14_S15_S17_S16_S1F_S1G_NSQ_IJLi26EEEENSQ_IJLi27ELi28EEEENSQ_IJLi29EEEEEEENSQ_IJLi26ELi27ELi28ELi29EEEElEERKNS8_INS1_IJSO_SM_SM_SO_SD_SD_S2V_S2X_EEENS1_IJSR_SS_ST_SV_SU_SW_SY_SX_EEENS1_IJS1M_SU_SV_S1N_SY_SZ_NSQ_IJLi9ELi10EEEES1A_EEENSQ_IJLi8ELi9ELi10ELi11EEEElEERKT_RKS2G_RKT2_NS25_IbXT0_EEENS25_IbXT1_EEE: ; @_ZN2ck32GridwiseGemmDlMultipleD_km_kn_mnILi256EffNS_5TupleIJfEEEfNS_16tensor_operation12element_wise11PassThroughES5_NS4_7AddReluELNS_25InMemoryDataOperationEnumE0ENS_16TensorDescriptorINS1_IJNS_5EmbedINS1_IJiiiiiEEESA_Lb0EEENS_11PassThroughIiEENS_3PadIiiiLb0EEESF_SF_SD_SD_NS9_INS1_IJiiEEESG_Lb0EEESH_SH_SD_NS_23Merge_v2_magic_divisionINS1_IJiiiiEEEEESK_NS_8RightPadIiiLb0EEESM_NS_7UnMergeISG_Lb0EEESD_EEENS1_IJNS_8SequenceIJLi0EEEENSQ_IJLi1EEEENSQ_IJLi2EEEENSQ_IJLi3EEEENSQ_IJLi4EEEENSQ_IJLi5EEEENSQ_IJLi6EEEENSQ_IJLi7EEEENSQ_IJLi8EEEENSQ_IJLi9EEEENSQ_IJLi10EEEENSQ_IJLi11ELi13ELi15ELi17EEEENSQ_IJLi12ELi14ELi16ELi18EEEENSQ_IJLi19EEEENSQ_IJLi20EEEENSQ_IJLi22EEEENSQ_IJLi21EEEEEEENS1_IJNSQ_IJLi1ELi2ELi3ELi4ELi5EEEESX_SY_SZ_S10_S11_NSQ_IJLi11EEEENSQ_IJLi12ELi13EEEENSQ_IJLi14ELi15EEEENSQ_IJLi16ELi17EEEENSQ_IJLi18EEEES14_S15_S17_S16_NSQ_IJLi23ELi24EEEENSQ_IJLi25EEEEEEENSQ_IJLi23ELi25ELi24EEEElEENS8_INS1_IJSO_SM_SM_SO_SD_EEENS1_IJSR_SS_ST_SV_SU_EEENS1_IJNSQ_IJLi1ELi2EEEESU_SV_NSQ_IJLi5ELi6EEEESY_EEENSQ_IJLi5ELi7ELi6EEEElEENS8_INS1_IJSH_SM_SM_EEENS1_IJSR_SS_ST_EEENS1_IJS1M_SU_SV_EEENSQ_IJLi3ELi4EEEElEELi128ELi128ELi16ELi1ELi4ELi4ELi1ENSQ_IJLi8ELi2EEEES1W_NSQ_IJLi8ELi1ELi1ELi1EEEENSQ_IJLi2ELi1ELi128ELi1EEEENSQ_IJLi1ELi2ELi0ELi3EEEES1Z_NSQ_IJLi4ELi1ELi1ELi1EEEES1Z_NSQ_IJLi1ELi1ELi1ELi1EEEES1X_S1Y_S1Z_S1Z_S20_S1Z_S21_NSQ_IJLi0ELi1ELi2ELi3ELi4ELi5EEEELi5ELi4EE3RunINS1_IJNS8_INS1_IJSH_SM_SM_NSN_INS1_IJiNS_17integral_constantIiLi2EEENS25_IiLi64EEEEEELb0EEES29_EEENS1_IJSR_SS_ST_SU_SV_EEENS1_IJS1M_SU_SV_NSQ_IJLi5ELi6ELi7EEEENSQ_IJLi8ELi9ELi10EEEEEEENSQ_IJLi5ELi6ELi7ELi8ELi9ELi10EEEElEEEEELb1ELb0ENS_31BlockToCTileMap_M00_N00_M01_N01ILi128ELi128ES1V_Lb0EEEEEvPKfS2L_NS1_IJS2L_EEEPfPvRKS5_S2Q_RKS6_RKNS8_INS1_IJSB_SD_SF_SF_SF_SD_SD_SH_SH_SH_SD_SK_SK_SM_SM_SO_SD_SD_NSN_INS1_IJiNS25_IiLi128EEEEEELb0EEENSC_INS25_IiLi1EEEEEEEENS1_IJSR_SS_ST_SU_SV_SW_SX_SY_SZ_S10_S11_S12_S13_S14_S15_S16_S17_NSQ_IJLi23EEEES1G_NSQ_IJLi24EEEEEEENS1_IJS19_SX_SY_SZ_S10_S11_S1A_S1B_S1C_S1D_S1E_S14_S15_S17_S16_S1F_S1G_NSQ_IJLi26EEEENSQ_IJLi27ELi28EEEENSQ_IJLi29EEEEEEENSQ_IJLi26ELi27ELi28ELi29EEEElEERKNS8_INS1_IJSO_SM_SM_SO_SD_SD_S2V_S2X_EEENS1_IJSR_SS_ST_SV_SU_SW_SY_SX_EEENS1_IJS1M_SU_SV_S1N_SY_SZ_NSQ_IJLi9ELi10EEEES1A_EEENSQ_IJLi8ELi9ELi10ELi11EEEElEERKT_RKS2G_RKT2_NS25_IbXT0_EEENS25_IbXT1_EEE
; %bb.0:
	s_waitcnt vmcnt(0) expcnt(0) lgkmcnt(0)
	v_accvgpr_write_b32 a6, v12
	v_accvgpr_write_b32 a2, v4
	;; [unrolled: 1-line block ×4, first 2 shown]
	flat_load_dwordx4 v[24:27], v[16:17] offset:68
	flat_load_dword v4, v[8:9] offset:276
	flat_load_dwordx3 v[96:98], v[8:9] offset:212
	flat_load_dwordx4 v[32:35], v[16:17] offset:88
	flat_load_dwordx4 v[36:39], v[16:17] offset:48
	flat_load_dwordx3 v[52:54], v[8:9] offset:228
	flat_load_dwordx3 v[64:66], v[8:9] offset:196
	flat_load_dword v13, v[16:17] offset:20
	flat_load_dwordx3 v[84:86], v[8:9] offset:160
	flat_load_dwordx3 v[68:70], v[8:9] offset:176
	flat_load_dword v12, v[16:17] offset:36
	flat_load_dwordx2 v[100:101], v[8:9] offset:128
	flat_load_dwordx3 v[80:82], v[8:9] offset:144
	v_and_b32_e32 v5, 0x3ff, v31
	flat_load_dwordx4 v[20:23], v[8:9] offset:60
	flat_load_dwordx4 v[28:31], v[8:9] offset:44
	flat_load_dword v114, v[8:9] offset:36
	flat_load_dwordx4 v[48:51], v[8:9] offset:20
	flat_load_dword v18, v[8:9] offset:312
	flat_load_dword v87, v[8:9] offset:260
	;; [unrolled: 1-line block ×3, first 2 shown]
	flat_load_dwordx2 v[16:17], v[8:9] offset:112
	flat_load_dwordx2 v[102:103], v[8:9] offset:96
	flat_load_dword v55, v[8:9] offset:76
	flat_load_dword v83, v[10:11] offset:88
	;; [unrolled: 1-line block ×4, first 2 shown]
	flat_load_dwordx2 a[4:5], v[14:15] offset:72
	v_accvgpr_write_b32 a0, v14
	v_accvgpr_write_b32 a1, v15
	v_lshlrev_b32_e32 v14, 3, v5
	v_and_b32_e32 v110, 8, v14
	v_lshrrev_b32_e32 v67, 1, v5
	v_mov_b32_e32 v95, 0x20000
	s_mov_b32 s26, 0
	s_mov_b64 s[10:11], exec
	s_waitcnt vmcnt(0) lgkmcnt(0)
	v_mul_hi_u32 v14, v27, s12
	v_mul_lo_u32 v27, v4, v110
	v_add_u32_e32 v14, s12, v14
	v_lshl_add_u32 v4, v4, 2, v27
	v_lshrrev_b32_e32 v14, v35, v14
	v_mul_hi_u32 v112, v27, v98
	v_mul_hi_u32 v98, v98, v4
	;; [unrolled: 1-line block ×3, first 2 shown]
	v_add_u32_e32 v35, v27, v112
	v_add_u32_e32 v98, v4, v98
	;; [unrolled: 1-line block ×3, first 2 shown]
	v_lshrrev_b32_e32 v35, v54, v35
	v_lshrrev_b32_e32 v54, v54, v98
	;; [unrolled: 1-line block ×3, first 2 shown]
	v_mul_hi_u32 v25, v98, v25
	v_add_u32_e32 v25, v98, v25
	v_lshrrev_b32_e32 v25, v33, v25
	v_mul_lo_u32 v39, v14, v39
	v_mul_hi_u32 v113, v35, v97
	v_mul_hi_u32 v24, v25, v24
	v_sub_u32_e32 v26, s12, v39
	v_mul_lo_u32 v39, v35, v66
	v_add_u32_e32 v34, v35, v113
	v_mul_hi_u32 v97, v54, v97
	v_add_u32_e32 v24, v25, v24
	v_sub_u32_e32 v112, v27, v39
	v_mul_lo_u32 v38, v98, v38
	v_lshrrev_b32_e32 v113, v53, v34
	v_add_u32_e32 v39, v54, v97
	v_lshrrev_b32_e32 v24, v32, v24
	v_sub_u32_e32 v34, v14, v38
	v_mul_hi_u32 v38, v113, v96
	v_lshrrev_b32_e32 v14, v53, v39
	v_mul_lo_u32 v39, v113, v65
	v_mul_lo_u32 v24, v24, v36
	v_sub_u32_e32 v33, v35, v39
	v_add_u32_e32 v35, v113, v38
	v_sub_u32_e32 v24, v25, v24
	v_mul_lo_u32 v37, v25, v37
	v_mad_u64_u32 v[24:25], s[4:5], v24, v13, v[34:35]
	v_readfirstlane_b32 s24, v24
	v_lshl_or_b32 v15, s24, 7, v67
	v_mul_hi_u32 v13, v86, v15
	v_add_u32_e32 v13, v15, v13
	v_lshrrev_b32_e32 v25, v70, v13
	v_mul_hi_u32 v13, v25, v85
	v_add_u32_e32 v13, v25, v13
	v_lshrrev_b32_e32 v36, v69, v13
	v_mul_hi_u32 v13, v36, v84
	v_mul_lo_u32 v38, v14, v65
	v_sub_u32_e32 v37, v98, v37
	v_add_u32_e32 v13, v36, v13
	v_lshrrev_b32_e32 v65, v68, v13
	v_mad_u64_u32 v[12:13], s[4:5], v37, v12, v[26:27]
	v_sub_u32_e32 v108, v54, v38
	v_lshrrev_b32_e32 v39, v52, v35
	v_mul_lo_u32 v24, v100, v33
	v_readfirstlane_b32 s25, v12
	v_mul_lo_u32 v12, v25, v82
	v_sub_u32_e32 v32, v108, v33
	v_mul_lo_u32 v33, v39, v64
	v_mul_lo_u32 v13, v36, v81
	v_sub_u32_e32 v53, v113, v33
	v_sub_u32_e32 v12, v15, v12
	;; [unrolled: 1-line block ×3, first 2 shown]
	v_mad_u64_u32 v[34:35], s[4:5], v101, v12, v[24:25]
	v_mul_lo_u32 v12, v16, v53
	v_mul_lo_u32 v38, v100, v32
	v_mad_u64_u32 v[32:33], s[4:5], v13, v17, v[12:13]
	v_sub_u32_e32 v12, v32, v20
	v_sub_u32_e32 v13, v34, v23
	v_mul_lo_u32 v26, v65, v80
	v_mul_lo_u32 v12, v12, v50
	;; [unrolled: 1-line block ×4, first 2 shown]
	v_add3_u32 v13, v17, v13, v12
	v_sub_u32_e32 v17, v36, v26
	v_mul_lo_u32 v12, v102, v39
	v_mad_u64_u32 v[36:37], s[4:5], v17, v103, v[12:13]
	v_sub_u32_e32 v17, v36, v29
	v_mul_lo_u32 v12, v65, v48
	v_mul_lo_u32 v17, v17, v49
	v_sub_u32_e32 v22, v22, v55
	v_add3_u32 v17, v13, v12, v17
	v_lshrrev_b32_e32 v12, 5, v5
	v_lshlrev_b32_e32 v24, 1, v5
	v_cmp_ge_i32_e64 s[6:7], v34, v23
	v_cmp_gt_i32_e64 s[8:9], v22, v34
	v_lshlrev_b32_e32 v13, 6, v12
	v_and_b32_e32 v25, 0x1f8, v24
	v_cmp_lt_i32_e64 s[4:5], v27, v87
	s_and_b64 s[6:7], s[6:7], s[8:9]
	v_sub_u32_e32 v21, v31, v21
	v_sub_u32_e32 v13, v25, v13
	v_lshlrev_b32_e32 v5, 2, v5
	s_and_b64 s[8:9], s[4:5], s[6:7]
	v_cmp_ge_i32_e64 s[4:5], v32, v20
	v_cmp_gt_i32_e64 s[6:7], v21, v32
	v_and_or_b32 v48, v5, 4, v13
	v_and_b32_e32 v5, 0x1fc, v24
	s_and_b64 s[4:5], s[4:5], s[6:7]
	v_sub_u32_e32 v33, v28, v30
	v_sub_u32_e32 v5, v5, v25
	s_and_b64 s[8:9], s[8:9], s[4:5]
	v_cmp_ge_i32_e64 s[4:5], v36, v29
	v_cmp_gt_i32_e64 s[6:7], v33, v36
	v_lshl_add_u32 v111, v12, 3, v5
	v_mul_lo_u32 v5, v54, v66
	s_and_b64 s[4:5], s[4:5], s[6:7]
	v_mul_hi_u32 v96, v14, v96
	v_cmp_lt_i32_e32 vcc, v15, v19
	v_sub_u32_e32 v55, v4, v5
	s_and_b64 s[4:5], s[8:9], s[4:5]
	v_lshl_or_b32 v12, s25, 7, v67
	v_mul_lo_u32 v28, v71, v110
	v_accvgpr_write_b32 a9, v15
	v_lshlrev_b32_e32 v94, 2, v18
	v_sub_u32_e32 v35, v55, v112
	v_add_u32_e32 v5, v14, v96
	s_and_b64 s[4:5], vcc, s[4:5]
	v_accvgpr_write_b32 a10, v12
	v_mad_u64_u32 v[30:31], s[6:7], v99, v12, v[28:29]
	v_lshlrev_b32_e32 v12, 2, v17
.LBB15_1:                               ; =>This Inner Loop Header: Depth=1
	v_readfirstlane_b32 s12, v0
	v_readfirstlane_b32 s13, v1
	;; [unrolled: 1-line block ×4, first 2 shown]
	v_cmp_eq_u64_e64 s[6:7], s[12:13], v[0:1]
	v_cmp_eq_u64_e64 s[8:9], s[14:15], v[94:95]
	s_and_b64 s[6:7], s[6:7], s[8:9]
	s_and_saveexec_b64 s[6:7], s[6:7]
	s_nop 0
	buffer_load_dwordx4 v[24:27], v12, s[12:15], 0 offen
                                        ; implicit-def: $vgpr12
	s_xor_b64 exec, exec, s[6:7]
	s_cbranch_execnz .LBB15_1
; %bb.2:
	s_mov_b64 exec, s[10:11]
	v_lshrrev_b32_e32 v12, v52, v5
	v_mul_lo_u32 v5, v12, v64
	v_sub_u32_e32 v13, v14, v5
	v_sub_u32_e32 v18, v13, v53
	v_add_u32_e32 v14, v34, v38
	v_sub_u32_e32 v5, v12, v39
	v_mul_lo_u32 v16, v16, v18
	v_cmp_le_i32_e64 s[6:7], v23, v14
	v_cmp_gt_i32_e64 s[8:9], v22, v14
	s_waitcnt vmcnt(0)
	v_cndmask_b32_e64 v27, 0, v27, s[4:5]
	v_cndmask_b32_e64 v26, 0, v26, s[4:5]
	;; [unrolled: 1-line block ×4, first 2 shown]
	v_mul_lo_u32 v18, v102, v5
	v_add_u32_e32 v5, v32, v16
	v_cmp_lt_i32_e64 s[4:5], v4, v87
	s_and_b64 s[6:7], s[6:7], s[8:9]
	s_and_b64 s[8:9], s[4:5], s[6:7]
	v_cmp_le_i32_e64 s[4:5], v20, v5
	v_cmp_gt_i32_e64 s[6:7], v21, v5
	v_add_u32_e32 v106, v36, v18
	s_and_b64 s[4:5], s[4:5], s[6:7]
	v_mul_lo_u32 v18, v18, v49
	v_mul_lo_u32 v16, v16, v50
	;; [unrolled: 1-line block ×3, first 2 shown]
	s_and_b64 s[8:9], s[8:9], s[4:5]
	v_cmp_le_i32_e64 s[4:5], v29, v106
	v_cmp_gt_i32_e64 s[6:7], v33, v106
	v_mul_lo_u32 v15, v114, v35
	v_add3_u32 v16, v16, v19, v18
	s_and_b64 s[4:5], s[4:5], s[6:7]
	v_add3_u32 v15, v16, v15, v17
	s_and_b64 s[4:5], s[8:9], s[4:5]
	v_lshlrev_b32_e32 v16, 2, v15
	s_and_b64 vcc, vcc, s[4:5]
	s_mov_b64 s[12:13], exec
.LBB15_3:                               ; =>This Inner Loop Header: Depth=1
	v_readfirstlane_b32 s8, v0
	v_readfirstlane_b32 s9, v1
	;; [unrolled: 1-line block ×4, first 2 shown]
	v_cmp_eq_u64_e64 s[4:5], s[8:9], v[0:1]
	v_cmp_eq_u64_e64 s[6:7], s[10:11], v[94:95]
	s_and_b64 s[4:5], s[4:5], s[6:7]
	s_and_saveexec_b64 s[4:5], s[4:5]
	s_nop 0
	buffer_load_dwordx4 v[20:23], v16, s[8:11], 0 offen
                                        ; implicit-def: $vgpr16
	s_xor_b64 exec, exec, s[4:5]
	s_cbranch_execnz .LBB15_3
; %bb.4:
	s_mov_b64 exec, s[12:13]
	flat_load_dword v16, v[10:11] offset:32
	flat_load_dword v18, v[10:11] offset:20
	v_accvgpr_read_b32 v19, a10
	s_waitcnt vmcnt(0)
	v_cndmask_b32_e32 v29, 0, v23, vcc
	v_cndmask_b32_e32 v31, 0, v22, vcc
	;; [unrolled: 1-line block ×4, first 2 shown]
	v_lshlrev_b32_e32 v104, 2, v83
	v_mov_b32_e32 v105, 0x20000
	v_lshlrev_b32_e32 v17, 2, v30
	s_mov_b64 s[10:11], exec
	s_waitcnt lgkmcnt(0)
	v_cmp_gt_i32_e64 s[4:5], v16, v28
	v_cmp_gt_i32_e32 vcc, v18, v19
	s_and_b64 s[4:5], vcc, s[4:5]
.LBB15_5:                               ; =>This Inner Loop Header: Depth=1
	v_readfirstlane_b32 s12, v2
	v_readfirstlane_b32 s13, v3
	;; [unrolled: 1-line block ×4, first 2 shown]
	v_cmp_eq_u64_e64 s[6:7], s[12:13], v[2:3]
	v_cmp_eq_u64_e64 s[8:9], s[14:15], v[104:105]
	s_and_b64 s[6:7], s[6:7], s[8:9]
	s_and_saveexec_b64 s[6:7], s[6:7]
	s_nop 0
	buffer_load_dwordx4 v[20:23], v17, s[12:15], 0 offen
                                        ; implicit-def: $vgpr17
	s_xor_b64 exec, exec, s[6:7]
	s_cbranch_execnz .LBB15_5
; %bb.6:
	s_mov_b64 exec, s[10:11]
	v_lshlrev_b32_e32 v17, 2, v71
	v_add_u32_e32 v107, v17, v28
	s_waitcnt vmcnt(0)
	v_cndmask_b32_e64 v34, 0, v23, s[4:5]
	v_cndmask_b32_e64 v35, 0, v22, s[4:5]
	;; [unrolled: 1-line block ×4, first 2 shown]
	v_add_u32_e32 v109, v30, v17
	v_cmp_gt_i32_e64 s[4:5], v16, v107
	v_lshlrev_b32_e32 v17, 2, v109
	s_and_b64 vcc, vcc, s[4:5]
	s_mov_b64 s[12:13], exec
.LBB15_7:                               ; =>This Inner Loop Header: Depth=1
	v_readfirstlane_b32 s8, v2
	v_readfirstlane_b32 s9, v3
	;; [unrolled: 1-line block ×4, first 2 shown]
	v_cmp_eq_u64_e64 s[4:5], s[8:9], v[2:3]
	v_cmp_eq_u64_e64 s[6:7], s[10:11], v[104:105]
	s_and_b64 s[4:5], s[4:5], s[6:7]
	s_and_saveexec_b64 s[4:5], s[4:5]
	s_nop 0
	buffer_load_dwordx4 v[20:23], v17, s[8:11], 0 offen
                                        ; implicit-def: $vgpr17
	s_xor_b64 exec, exec, s[4:5]
	s_cbranch_execnz .LBB15_7
; %bb.8:
	s_mov_b64 exec, s[12:13]
	flat_load_dword v18, v[8:9] offset:288
	s_waitcnt vmcnt(0)
	v_cndmask_b32_e32 v19, 0, v23, vcc
	v_lshlrev_b32_e32 v23, 2, v67
	v_lshl_or_b32 v121, v110, 9, v23
	s_mov_b64 s[16:17], 0
	v_mov_b32_e32 v60, 0
	v_mov_b32_e32 v61, 0
	;; [unrolled: 1-line block ×64, first 2 shown]
	v_accvgpr_write_b32 a8, v111
	v_lshlrev_b32_e32 v51, 2, v111
	v_accvgpr_write_b32 a5, v48
	v_lshlrev_b32_e32 v110, 2, v48
	v_mov_b32_e32 v111, v4
	v_cndmask_b32_e32 v22, 0, v22, vcc
	v_cndmask_b32_e32 v21, 0, v21, vcc
	;; [unrolled: 1-line block ×3, first 2 shown]
	ds_write2st64_b32 v121, v24, v25 offset1:2
	ds_write2st64_b32 v121, v26, v27 offset0:4 offset1:6
	ds_write2st64_b32 v121, v33, v32 offset0:8 offset1:10
	ds_write2st64_b32 v121, v31, v29 offset0:12 offset1:14
	ds_write2st64_b32 v121, v37, v36 offset0:64 offset1:66
	ds_write2st64_b32 v121, v35, v34 offset0:68 offset1:70
	ds_write2st64_b32 v121, v20, v21 offset0:72 offset1:74
	ds_write2st64_b32 v121, v22, v19 offset0:76 offset1:78
	s_waitcnt lgkmcnt(0)
	v_subrev_u32_e32 v18, 32, v18
	v_accvgpr_write_b32 a11, v18
	v_or_b32_e32 v18, 0x4000, v121
	v_accvgpr_write_b32 a12, v18
	v_or_b32_e32 v18, 0x2000, v121
	;; [unrolled: 2-line block ×3, first 2 shown]
	v_accvgpr_write_b32 a14, v18
.LBB15_9:                               ; =>This Loop Header: Depth=1
                                        ;     Child Loop BB15_10 Depth 2
                                        ;     Child Loop BB15_12 Depth 2
	;; [unrolled: 1-line block ×8, first 2 shown]
	flat_load_dword v18, v[8:9] offset:276
	flat_load_dwordx4 v[28:31], v[8:9] offset:24
	flat_load_dword v120, v[10:11] offset:48
	flat_load_dword v19, v[8:9] offset:248
	flat_load_dwordx4 v[20:23], v[8:9] offset:60
	flat_load_dword v32, v[8:9] offset:76
	flat_load_dwordx4 v[24:27], v[8:9] offset:44
	flat_load_dword v33, v[10:11] offset:20
	flat_load_dwordx3 v[124:126], v[8:9] offset:212
	flat_load_dword v127, v[8:9] offset:260
	flat_load_dword v122, v[10:11] offset:32
	flat_load_dwordx3 v[48:50], v[8:9] offset:228
	flat_load_dwordx3 v[34:36], v[8:9] offset:196
	flat_load_dword v37, v[8:9] offset:128
	flat_load_dword v38, v[8:9] offset:112
	s_mov_b64 s[22:23], exec
	s_waitcnt vmcnt(0) lgkmcnt(0)
	v_mul_lo_u32 v39, v18, 12
	v_mov_b32_e32 v54, v31
	v_mov_b32_e32 v53, v30
	;; [unrolled: 1-line block ×3, first 2 shown]
	v_accvgpr_read_b32 v29, a9
	v_cmp_lt_i32_e32 vcc, v29, v19
	v_sub_u32_e32 v19, v22, v32
	v_sub_u32_e32 v22, v24, v26
	v_lshlrev_b32_e32 v24, 2, v18
	v_accvgpr_read_b32 v18, a10
	v_add_u32_e32 v4, v39, v4
	v_cmp_gt_i32_e64 s[4:5], v33, v18
	v_add_u32_e32 v18, v39, v111
	v_mul_hi_u32 v26, v4, v126
	v_add_u32_e32 v123, v24, v4
	v_cmp_lt_i32_e64 s[8:9], v18, v127
	v_add_u32_e32 v18, v24, v18
	v_add_u32_e32 v24, v4, v26
	v_mul_hi_u32 v26, v123, v126
	v_mul_lo_u32 v30, v120, 12
	v_lshrrev_b32_e32 v24, v50, v24
	v_add_u32_e32 v26, v123, v26
	v_sub_u32_e32 v21, v27, v21
	v_add_u32_e32 v29, v30, v107
	v_add_u32_e32 v109, v30, v109
	v_mul_lo_u32 v27, v24, v36
	v_mul_hi_u32 v30, v24, v125
	v_lshrrev_b32_e32 v31, v50, v26
	v_sub_u32_e32 v4, v4, v27
	v_add_u32_e32 v26, v24, v30
	v_mul_lo_u32 v27, v31, v36
	v_mul_hi_u32 v30, v31, v125
	v_sub_u32_e32 v32, v4, v55
	v_lshrrev_b32_e32 v26, v49, v26
	v_sub_u32_e32 v55, v123, v27
	v_add_u32_e32 v27, v31, v30
	v_mul_lo_u32 v30, v26, v35
	v_mul_hi_u32 v33, v26, v124
	v_sub_u32_e32 v36, v55, v4
	v_lshrrev_b32_e32 v4, v49, v27
	v_sub_u32_e32 v30, v24, v30
	v_add_u32_e32 v27, v26, v33
	v_mul_lo_u32 v33, v4, v35
	v_mul_lo_u32 v24, v54, v36
	v_sub_u32_e32 v36, v30, v108
	v_sub_u32_e32 v108, v31, v33
	v_mul_lo_u32 v31, v36, v37
	v_sub_u32_e32 v30, v108, v30
	v_add_u32_e32 v33, v31, v14
	v_mul_lo_u32 v30, v30, v37
	v_cmp_lt_i32_e64 s[10:11], v18, v127
	v_cmp_le_i32_e64 s[12:13], v23, v33
	v_cmp_gt_i32_e64 s[14:15], v19, v33
	v_add_u32_e32 v127, v30, v33
	s_and_b64 s[18:19], s[12:13], s[14:15]
	v_cmp_le_i32_e64 s[12:13], v23, v127
	v_cmp_gt_i32_e64 s[14:15], v19, v127
	v_cmp_gt_i32_e64 s[6:7], v122, v29
	v_mul_lo_u32 v32, v54, v32
	v_mul_hi_u32 v35, v4, v124
	v_mul_lo_u32 v14, v31, v53
	s_and_b64 s[20:21], s[8:9], s[18:19]
	s_and_b64 s[8:9], s[12:13], s[14:15]
	v_lshlrev_b32_e32 v39, 2, v109
	s_and_b64 s[6:7], s[4:5], s[6:7]
	v_add_u32_e32 v35, v4, v35
	v_add3_u32 v14, v32, v15, v14
	v_mul_lo_u32 v36, v30, v53
	s_and_b64 s[18:19], s[10:11], s[8:9]
.LBB15_10:                              ;   Parent Loop BB15_9 Depth=1
                                        ; =>  This Inner Loop Header: Depth=2
	v_readfirstlane_b32 s12, v2
	v_readfirstlane_b32 s13, v3
	;; [unrolled: 1-line block ×4, first 2 shown]
	v_cmp_eq_u64_e64 s[8:9], s[12:13], v[2:3]
	v_cmp_eq_u64_e64 s[10:11], s[14:15], v[104:105]
	s_and_b64 s[8:9], s[8:9], s[10:11]
	s_and_saveexec_b64 s[8:9], s[8:9]
	s_nop 0
	buffer_load_dwordx4 v[30:33], v39, s[12:15], 0 offen
                                        ; implicit-def: $vgpr39
	s_xor_b64 exec, exec, s[8:9]
	s_cbranch_execnz .LBB15_10
; %bb.11:                               ;   in Loop: Header=BB15_9 Depth=1
	s_mov_b64 exec, s[22:23]
	v_lshlrev_b32_e32 v15, 2, v120
	v_add_u32_e32 v107, v15, v29
	s_waitcnt vmcnt(0)
	v_cndmask_b32_e64 v37, 0, v33, s[6:7]
	v_cndmask_b32_e64 v126, 0, v32, s[6:7]
	;; [unrolled: 1-line block ×4, first 2 shown]
	v_add_u32_e32 v109, v15, v109
	v_cmp_gt_i32_e64 s[6:7], v122, v107
	v_lshlrev_b32_e32 v15, 2, v109
	s_and_b64 s[4:5], s[4:5], s[6:7]
	s_mov_b64 s[10:11], exec
.LBB15_12:                              ;   Parent Loop BB15_9 Depth=1
                                        ; =>  This Inner Loop Header: Depth=2
	v_readfirstlane_b32 s12, v2
	v_readfirstlane_b32 s13, v3
	v_readfirstlane_b32 s14, v104
	v_readfirstlane_b32 s15, v105
	v_cmp_eq_u64_e64 s[6:7], s[12:13], v[2:3]
	v_cmp_eq_u64_e64 s[8:9], s[14:15], v[104:105]
	s_and_b64 s[6:7], s[6:7], s[8:9]
	s_and_saveexec_b64 s[6:7], s[6:7]
	s_nop 0
	buffer_load_dwordx4 v[30:33], v15, s[12:15], 0 offen
                                        ; implicit-def: $vgpr15
	s_xor_b64 exec, exec, s[6:7]
	s_cbranch_execnz .LBB15_12
; %bb.13:                               ;   in Loop: Header=BB15_9 Depth=1
	s_mov_b64 exec, s[10:11]
	flat_load_dword v23, v[8:9] offset:96
	s_waitcnt vmcnt(0)
	v_cndmask_b32_e64 v122, 0, v30, s[4:5]
	v_lshrrev_b32_e32 v30, v48, v27
	v_mul_lo_u32 v15, v30, v34
	v_cndmask_b32_e64 v54, 0, v31, s[4:5]
	v_sub_u32_e32 v31, v26, v15
	v_sub_u32_e32 v19, v30, v12
	;; [unrolled: 1-line block ×3, first 2 shown]
	v_mul_lo_u32 v13, v12, v38
	v_add_u32_e32 v12, v13, v5
	v_cndmask_b32_e64 v50, 0, v33, s[4:5]
	v_cndmask_b32_e64 v53, 0, v32, s[4:5]
	v_cmp_le_i32_e64 s[4:5], v20, v12
	v_cmp_gt_i32_e64 s[6:7], v21, v12
	v_mul_lo_u32 v5, v13, v52
	s_and_b64 s[4:5], s[4:5], s[6:7]
	s_and_b64 s[8:9], s[20:21], s[4:5]
	s_mov_b64 s[10:11], exec
	s_waitcnt lgkmcnt(0)
	v_mul_lo_u32 v15, v19, v23
	v_add_u32_e32 v13, v15, v106
	v_cmp_le_i32_e64 s[4:5], v25, v13
	v_cmp_gt_i32_e64 s[6:7], v22, v13
	v_mul_lo_u32 v15, v15, v28
	s_and_b64 s[4:5], s[4:5], s[6:7]
	v_add3_u32 v32, v14, v15, v5
	s_and_b64 s[4:5], s[8:9], s[4:5]
	v_lshlrev_b32_e32 v5, 2, v32
	s_and_b64 s[4:5], vcc, s[4:5]
.LBB15_14:                              ;   Parent Loop BB15_9 Depth=1
                                        ; =>  This Inner Loop Header: Depth=2
	v_readfirstlane_b32 s12, v0
	v_readfirstlane_b32 s13, v1
	;; [unrolled: 1-line block ×4, first 2 shown]
	v_cmp_eq_u64_e64 s[6:7], s[12:13], v[0:1]
	v_cmp_eq_u64_e64 s[8:9], s[14:15], v[94:95]
	s_and_b64 s[6:7], s[6:7], s[8:9]
	s_and_saveexec_b64 s[6:7], s[6:7]
	s_nop 0
	buffer_load_dwordx4 v[26:29], v5, s[12:15], 0 offen
                                        ; implicit-def: $vgpr5
	s_xor_b64 exec, exec, s[6:7]
	s_cbranch_execnz .LBB15_14
; %bb.15:                               ;   in Loop: Header=BB15_9 Depth=1
	s_mov_b64 exec, s[10:11]
	flat_load_dwordx2 v[124:125], v[8:9] offset:24
	v_lshrrev_b32_e32 v5, v48, v35
	v_add3_u32 v19, v24, v32, v36
	v_mul_lo_u32 v24, v5, v34
	s_waitcnt vmcnt(0)
	v_cndmask_b32_e64 v120, 0, v26, s[4:5]
	v_sub_u32_e32 v26, v5, v30
	v_sub_u32_e32 v4, v4, v24
	v_mul_lo_u32 v23, v26, v23
	v_sub_u32_e32 v24, v4, v31
	v_add_u32_e32 v106, v23, v13
	v_mul_lo_u32 v24, v24, v38
	v_cndmask_b32_e64 v52, 0, v29, s[4:5]
	v_cndmask_b32_e64 v15, 0, v28, s[4:5]
	;; [unrolled: 1-line block ×3, first 2 shown]
	v_cmp_le_i32_e64 s[4:5], v25, v106
	v_cmp_gt_i32_e64 s[6:7], v22, v106
	v_add_u32_e32 v13, v24, v12
	s_and_b64 s[8:9], s[4:5], s[6:7]
	v_cmp_le_i32_e64 s[4:5], v20, v13
	v_cmp_gt_i32_e64 s[6:7], v21, v13
	s_and_b64 s[4:5], s[4:5], s[6:7]
	s_and_b64 s[4:5], s[18:19], s[4:5]
	;; [unrolled: 1-line block ×3, first 2 shown]
	s_and_b64 vcc, vcc, s[4:5]
	s_mov_b64 s[12:13], exec
	s_waitcnt lgkmcnt(0)
	v_mul_lo_u32 v12, v23, v124
	v_mul_lo_u32 v20, v24, v125
	v_add3_u32 v12, v19, v12, v20
	v_lshlrev_b32_e32 v24, 2, v12
.LBB15_16:                              ;   Parent Loop BB15_9 Depth=1
                                        ; =>  This Inner Loop Header: Depth=2
	v_readfirstlane_b32 s8, v0
	v_readfirstlane_b32 s9, v1
	;; [unrolled: 1-line block ×4, first 2 shown]
	v_cmp_eq_u64_e64 s[4:5], s[8:9], v[0:1]
	v_cmp_eq_u64_e64 s[6:7], s[10:11], v[94:95]
	s_and_b64 s[4:5], s[4:5], s[6:7]
	s_and_saveexec_b64 s[4:5], s[4:5]
	s_nop 0
	buffer_load_dwordx4 v[20:23], v24, s[8:11], 0 offen
                                        ; implicit-def: $vgpr24
	s_xor_b64 exec, exec, s[4:5]
	s_cbranch_execnz .LBB15_16
; %bb.17:                               ;   in Loop: Header=BB15_9 Depth=1
	s_mov_b64 exec, s[12:13]
	s_waitcnt vmcnt(0)
	v_cndmask_b32_e32 v48, 0, v23, vcc
	v_cndmask_b32_e32 v111, 0, v22, vcc
	s_waitcnt lgkmcnt(0)
	s_barrier
	ds_read_b128 v[24:27], v51
	ds_read_b128 v[28:31], v110 offset:16384
	v_cndmask_b32_e32 v36, 0, v21, vcc
	v_cndmask_b32_e32 v38, 0, v20, vcc
	ds_read_b128 v[20:23], v110 offset:16640
	ds_read_b128 v[32:35], v51 offset:256
	s_waitcnt lgkmcnt(2)
	;;#ASMSTART
	
             v_fmac_f32 v92, v24, v28 
             
	;;#ASMEND
	;;#ASMSTART
	
             v_fmac_f32 v93, v24, v29 
             
	;;#ASMEND
	;; [unrolled: 5-line block ×16, first 2 shown]
	s_waitcnt lgkmcnt(1)
	;;#ASMSTART
	
             v_fmac_f32 v88, v24, v20 
             
	;;#ASMEND
	;;#ASMSTART
	
             v_fmac_f32 v89, v24, v21 
             
	;;#ASMEND
	;; [unrolled: 5-line block ×16, first 2 shown]
	ds_read_b128 v[24:27], v51 offset:512
	s_waitcnt lgkmcnt(1)
	;;#ASMSTART
	
             v_fmac_f32 v60, v32, v28 
             
	;;#ASMEND
	;;#ASMSTART
	
             v_fmac_f32 v61, v32, v29 
             
	;;#ASMEND
	;; [unrolled: 5-line block ×16, first 2 shown]
	ds_read_b128 v[28:31], v110 offset:16896
	;;#ASMSTART
	
             v_fmac_f32 v56, v32, v20 
             
	;;#ASMEND
	;;#ASMSTART
	
             v_fmac_f32 v57, v32, v21 
             
	;;#ASMEND
	;; [unrolled: 5-line block ×16, first 2 shown]
	ds_read_b128 v[20:23], v110 offset:17152
	ds_read_b128 v[32:35], v51 offset:768
	s_waitcnt lgkmcnt(2)
	;;#ASMSTART
	
             v_fmac_f32 v92, v24, v28 
             
	;;#ASMEND
	;;#ASMSTART
	
             v_fmac_f32 v93, v24, v29 
             
	;;#ASMEND
	;;#ASMSTART
	
             v_fmac_f32 v90, v24, v30 
             
	;;#ASMEND
	;;#ASMSTART
	
             v_fmac_f32 v91, v24, v31 
             
	;;#ASMEND
	;;#ASMSTART
	
             v_fmac_f32 v76, v25, v28 
             
	;;#ASMEND
	;;#ASMSTART
	
             v_fmac_f32 v77, v25, v29 
             
	;;#ASMEND
	;;#ASMSTART
	
             v_fmac_f32 v74, v25, v30 
             
	;;#ASMEND
	;;#ASMSTART
	
             v_fmac_f32 v75, v25, v31 
             
	;;#ASMEND
	;;#ASMSTART
	
             v_fmac_f32 v66, v26, v28 
             
	;;#ASMEND
	;;#ASMSTART
	
             v_fmac_f32 v67, v26, v29 
             
	;;#ASMEND
	;;#ASMSTART
	
             v_fmac_f32 v64, v26, v30 
             
	;;#ASMEND
	;;#ASMSTART
	
             v_fmac_f32 v65, v26, v31 
             
	;;#ASMEND
	;;#ASMSTART
	
             v_fmac_f32 v72, v27, v28 
             
	;;#ASMEND
	;;#ASMSTART
	
             v_fmac_f32 v73, v27, v29 
             
	;;#ASMEND
	;;#ASMSTART
	
             v_fmac_f32 v62, v27, v30 
             
	;;#ASMEND
	;;#ASMSTART
	
             v_fmac_f32 v63, v27, v31 
             
	;;#ASMEND
	s_waitcnt lgkmcnt(1)
	;;#ASMSTART
	
             v_fmac_f32 v88, v24, v20 
             
	;;#ASMEND
	;;#ASMSTART
	
             v_fmac_f32 v89, v24, v21 
             
	;;#ASMEND
	;; [unrolled: 5-line block ×16, first 2 shown]
	ds_read_b128 v[24:27], v51 offset:1024
	s_waitcnt lgkmcnt(1)
	;;#ASMSTART
	
             v_fmac_f32 v60, v32, v28 
             
	;;#ASMEND
	;;#ASMSTART
	
             v_fmac_f32 v61, v32, v29 
             
	;;#ASMEND
	;; [unrolled: 5-line block ×16, first 2 shown]
	ds_read_b128 v[28:31], v110 offset:17408
	;;#ASMSTART
	
             v_fmac_f32 v56, v32, v20 
             
	;;#ASMEND
	;;#ASMSTART
	
             v_fmac_f32 v57, v32, v21 
             
	;;#ASMEND
	;; [unrolled: 5-line block ×16, first 2 shown]
	ds_read_b128 v[20:23], v110 offset:17664
	ds_read_b128 v[32:35], v51 offset:1280
	s_waitcnt lgkmcnt(2)
	;;#ASMSTART
	
             v_fmac_f32 v92, v24, v28 
             
	;;#ASMEND
	;;#ASMSTART
	
             v_fmac_f32 v93, v24, v29 
             
	;;#ASMEND
	;; [unrolled: 5-line block ×16, first 2 shown]
	s_waitcnt lgkmcnt(1)
	;;#ASMSTART
	
             v_fmac_f32 v88, v24, v20 
             
	;;#ASMEND
	;;#ASMSTART
	
             v_fmac_f32 v89, v24, v21 
             
	;;#ASMEND
	;; [unrolled: 5-line block ×16, first 2 shown]
	ds_read_b128 v[24:27], v51 offset:1536
	s_waitcnt lgkmcnt(1)
	;;#ASMSTART
	
             v_fmac_f32 v60, v32, v28 
             
	;;#ASMEND
	;;#ASMSTART
	
             v_fmac_f32 v61, v32, v29 
             
	;;#ASMEND
	;; [unrolled: 5-line block ×16, first 2 shown]
	ds_read_b128 v[28:31], v110 offset:17920
	;;#ASMSTART
	
             v_fmac_f32 v56, v32, v20 
             
	;;#ASMEND
	;;#ASMSTART
	
             v_fmac_f32 v57, v32, v21 
             
	;;#ASMEND
	;; [unrolled: 5-line block ×16, first 2 shown]
	ds_read_b128 v[20:23], v110 offset:18176
	ds_read_b128 v[32:35], v51 offset:1792
	s_waitcnt lgkmcnt(2)
	;;#ASMSTART
	
             v_fmac_f32 v92, v24, v28 
             
	;;#ASMEND
	;;#ASMSTART
	
             v_fmac_f32 v93, v24, v29 
             
	;;#ASMEND
	;; [unrolled: 5-line block ×16, first 2 shown]
	s_waitcnt lgkmcnt(1)
	;;#ASMSTART
	
             v_fmac_f32 v88, v24, v20 
             
	;;#ASMEND
	;;#ASMSTART
	
             v_fmac_f32 v89, v24, v21 
             
	;;#ASMEND
	;; [unrolled: 5-line block ×16, first 2 shown]
	ds_read_b128 v[24:27], v51 offset:2048
	s_waitcnt lgkmcnt(1)
	;;#ASMSTART
	
             v_fmac_f32 v60, v32, v28 
             
	;;#ASMEND
	;;#ASMSTART
	
             v_fmac_f32 v61, v32, v29 
             
	;;#ASMEND
	;; [unrolled: 5-line block ×16, first 2 shown]
	ds_read_b128 v[28:31], v110 offset:18432
	;;#ASMSTART
	
             v_fmac_f32 v56, v32, v20 
             
	;;#ASMEND
	;;#ASMSTART
	
             v_fmac_f32 v57, v32, v21 
             
	;;#ASMEND
	;; [unrolled: 5-line block ×16, first 2 shown]
	ds_read_b128 v[20:23], v110 offset:18688
	ds_read_b128 v[32:35], v51 offset:2304
	s_waitcnt lgkmcnt(2)
	;;#ASMSTART
	
             v_fmac_f32 v92, v24, v28 
             
	;;#ASMEND
	;;#ASMSTART
	
             v_fmac_f32 v93, v24, v29 
             
	;;#ASMEND
	;; [unrolled: 5-line block ×16, first 2 shown]
	s_waitcnt lgkmcnt(1)
	;;#ASMSTART
	
             v_fmac_f32 v88, v24, v20 
             
	;;#ASMEND
	;;#ASMSTART
	
             v_fmac_f32 v89, v24, v21 
             
	;;#ASMEND
	;; [unrolled: 5-line block ×16, first 2 shown]
	ds_read_b128 v[24:27], v51 offset:2560
	s_waitcnt lgkmcnt(1)
	;;#ASMSTART
	
             v_fmac_f32 v60, v32, v28 
             
	;;#ASMEND
	;;#ASMSTART
	
             v_fmac_f32 v61, v32, v29 
             
	;;#ASMEND
	;; [unrolled: 5-line block ×16, first 2 shown]
	ds_read_b128 v[28:31], v110 offset:18944
	;;#ASMSTART
	
             v_fmac_f32 v56, v32, v20 
             
	;;#ASMEND
	;;#ASMSTART
	
             v_fmac_f32 v57, v32, v21 
             
	;;#ASMEND
	;; [unrolled: 5-line block ×16, first 2 shown]
	ds_read_b128 v[20:23], v110 offset:19200
	ds_read_b128 v[32:35], v51 offset:2816
	s_waitcnt lgkmcnt(2)
	;;#ASMSTART
	
             v_fmac_f32 v92, v24, v28 
             
	;;#ASMEND
	;;#ASMSTART
	
             v_fmac_f32 v93, v24, v29 
             
	;;#ASMEND
	;;#ASMSTART
	
             v_fmac_f32 v90, v24, v30 
             
	;;#ASMEND
	;;#ASMSTART
	
             v_fmac_f32 v91, v24, v31 
             
	;;#ASMEND
	;;#ASMSTART
	
             v_fmac_f32 v76, v25, v28 
             
	;;#ASMEND
	;;#ASMSTART
	
             v_fmac_f32 v77, v25, v29 
             
	;;#ASMEND
	;;#ASMSTART
	
             v_fmac_f32 v74, v25, v30 
             
	;;#ASMEND
	;;#ASMSTART
	
             v_fmac_f32 v75, v25, v31 
             
	;;#ASMEND
	;;#ASMSTART
	
             v_fmac_f32 v66, v26, v28 
             
	;;#ASMEND
	;;#ASMSTART
	
             v_fmac_f32 v67, v26, v29 
             
	;;#ASMEND
	;;#ASMSTART
	
             v_fmac_f32 v64, v26, v30 
             
	;;#ASMEND
	;;#ASMSTART
	
             v_fmac_f32 v65, v26, v31 
             
	;;#ASMEND
	;;#ASMSTART
	
             v_fmac_f32 v72, v27, v28 
             
	;;#ASMEND
	;;#ASMSTART
	
             v_fmac_f32 v73, v27, v29 
             
	;;#ASMEND
	;;#ASMSTART
	
             v_fmac_f32 v62, v27, v30 
             
	;;#ASMEND
	;;#ASMSTART
	
             v_fmac_f32 v63, v27, v31 
             
	;;#ASMEND
	s_waitcnt lgkmcnt(1)
	;;#ASMSTART
	
             v_fmac_f32 v88, v24, v20 
             
	;;#ASMEND
	;;#ASMSTART
	
             v_fmac_f32 v89, v24, v21 
             
	;;#ASMEND
	;; [unrolled: 5-line block ×16, first 2 shown]
	ds_read_b128 v[24:27], v51 offset:3072
	s_waitcnt lgkmcnt(1)
	;;#ASMSTART
	
             v_fmac_f32 v60, v32, v28 
             
	;;#ASMEND
	;;#ASMSTART
	
             v_fmac_f32 v61, v32, v29 
             
	;;#ASMEND
	;; [unrolled: 5-line block ×16, first 2 shown]
	ds_read_b128 v[28:31], v110 offset:19456
	;;#ASMSTART
	
             v_fmac_f32 v56, v32, v20 
             
	;;#ASMEND
	;;#ASMSTART
	
             v_fmac_f32 v57, v32, v21 
             
	;;#ASMEND
	;; [unrolled: 5-line block ×16, first 2 shown]
	ds_read_b128 v[20:23], v110 offset:19712
	ds_read_b128 v[32:35], v51 offset:3328
	s_waitcnt lgkmcnt(2)
	;;#ASMSTART
	
             v_fmac_f32 v92, v24, v28 
             
	;;#ASMEND
	;;#ASMSTART
	
             v_fmac_f32 v93, v24, v29 
             
	;;#ASMEND
	;; [unrolled: 5-line block ×16, first 2 shown]
	s_waitcnt lgkmcnt(1)
	;;#ASMSTART
	
             v_fmac_f32 v88, v24, v20 
             
	;;#ASMEND
	;;#ASMSTART
	
             v_fmac_f32 v89, v24, v21 
             
	;;#ASMEND
	;; [unrolled: 5-line block ×16, first 2 shown]
	ds_read_b128 v[24:27], v51 offset:3584
	s_waitcnt lgkmcnt(1)
	;;#ASMSTART
	
             v_fmac_f32 v60, v32, v28 
             
	;;#ASMEND
	;;#ASMSTART
	
             v_fmac_f32 v61, v32, v29 
             
	;;#ASMEND
	;; [unrolled: 5-line block ×16, first 2 shown]
	ds_read_b128 v[28:31], v110 offset:19968
	;;#ASMSTART
	
             v_fmac_f32 v56, v32, v20 
             
	;;#ASMEND
	;;#ASMSTART
	
             v_fmac_f32 v57, v32, v21 
             
	;;#ASMEND
	;; [unrolled: 5-line block ×16, first 2 shown]
	ds_read_b128 v[20:23], v110 offset:20224
	ds_read_b128 v[32:35], v51 offset:3840
	s_waitcnt lgkmcnt(2)
	;;#ASMSTART
	
             v_fmac_f32 v92, v24, v28 
             
	;;#ASMEND
	;;#ASMSTART
	
             v_fmac_f32 v93, v24, v29 
             
	;;#ASMEND
	;; [unrolled: 5-line block ×16, first 2 shown]
	s_waitcnt lgkmcnt(1)
	;;#ASMSTART
	
             v_fmac_f32 v88, v24, v20 
             
	;;#ASMEND
	;;#ASMSTART
	
             v_fmac_f32 v89, v24, v21 
             
	;;#ASMEND
	;; [unrolled: 5-line block ×16, first 2 shown]
	ds_read_b128 v[24:27], v51 offset:4096
	s_waitcnt lgkmcnt(1)
	;;#ASMSTART
	
             v_fmac_f32 v60, v32, v28 
             
	;;#ASMEND
	;;#ASMSTART
	
             v_fmac_f32 v61, v32, v29 
             
	;;#ASMEND
	;; [unrolled: 5-line block ×16, first 2 shown]
	ds_read_b128 v[28:31], v110 offset:20480
	;;#ASMSTART
	
             v_fmac_f32 v56, v32, v20 
             
	;;#ASMEND
	;;#ASMSTART
	
             v_fmac_f32 v57, v32, v21 
             
	;;#ASMEND
	;; [unrolled: 5-line block ×16, first 2 shown]
	ds_read_b128 v[20:23], v110 offset:20736
	ds_read_b128 v[32:35], v51 offset:4352
	s_waitcnt lgkmcnt(2)
	;;#ASMSTART
	
             v_fmac_f32 v92, v24, v28 
             
	;;#ASMEND
	;;#ASMSTART
	
             v_fmac_f32 v93, v24, v29 
             
	;;#ASMEND
	;; [unrolled: 5-line block ×16, first 2 shown]
	s_waitcnt lgkmcnt(1)
	;;#ASMSTART
	
             v_fmac_f32 v88, v24, v20 
             
	;;#ASMEND
	;;#ASMSTART
	
             v_fmac_f32 v89, v24, v21 
             
	;;#ASMEND
	;; [unrolled: 5-line block ×16, first 2 shown]
	ds_read_b128 v[24:27], v51 offset:4608
	s_waitcnt lgkmcnt(1)
	;;#ASMSTART
	
             v_fmac_f32 v60, v32, v28 
             
	;;#ASMEND
	;;#ASMSTART
	
             v_fmac_f32 v61, v32, v29 
             
	;;#ASMEND
	;; [unrolled: 5-line block ×16, first 2 shown]
	ds_read_b128 v[28:31], v110 offset:20992
	;;#ASMSTART
	
             v_fmac_f32 v56, v32, v20 
             
	;;#ASMEND
	;;#ASMSTART
	
             v_fmac_f32 v57, v32, v21 
             
	;;#ASMEND
	;; [unrolled: 5-line block ×16, first 2 shown]
	ds_read_b128 v[20:23], v110 offset:21248
	ds_read_b128 v[32:35], v51 offset:4864
	s_waitcnt lgkmcnt(2)
	;;#ASMSTART
	
             v_fmac_f32 v92, v24, v28 
             
	;;#ASMEND
	;;#ASMSTART
	
             v_fmac_f32 v93, v24, v29 
             
	;;#ASMEND
	;; [unrolled: 5-line block ×16, first 2 shown]
	s_waitcnt lgkmcnt(1)
	;;#ASMSTART
	
             v_fmac_f32 v88, v24, v20 
             
	;;#ASMEND
	;;#ASMSTART
	
             v_fmac_f32 v89, v24, v21 
             
	;;#ASMEND
	;; [unrolled: 5-line block ×16, first 2 shown]
	ds_read_b128 v[24:27], v51 offset:5120
	s_waitcnt lgkmcnt(1)
	;;#ASMSTART
	
             v_fmac_f32 v60, v32, v28 
             
	;;#ASMEND
	;;#ASMSTART
	
             v_fmac_f32 v61, v32, v29 
             
	;;#ASMEND
	;; [unrolled: 5-line block ×16, first 2 shown]
	ds_read_b128 v[28:31], v110 offset:21504
	;;#ASMSTART
	
             v_fmac_f32 v56, v32, v20 
             
	;;#ASMEND
	;;#ASMSTART
	
             v_fmac_f32 v57, v32, v21 
             
	;;#ASMEND
	;; [unrolled: 5-line block ×16, first 2 shown]
	ds_read_b128 v[20:23], v110 offset:21760
	ds_read_b128 v[32:35], v51 offset:5376
	s_waitcnt lgkmcnt(2)
	;;#ASMSTART
	
             v_fmac_f32 v92, v24, v28 
             
	;;#ASMEND
	;;#ASMSTART
	
             v_fmac_f32 v93, v24, v29 
             
	;;#ASMEND
	;; [unrolled: 5-line block ×16, first 2 shown]
	s_waitcnt lgkmcnt(1)
	;;#ASMSTART
	
             v_fmac_f32 v88, v24, v20 
             
	;;#ASMEND
	;;#ASMSTART
	
             v_fmac_f32 v89, v24, v21 
             
	;;#ASMEND
	;; [unrolled: 5-line block ×16, first 2 shown]
	ds_read_b128 v[24:27], v51 offset:5632
	s_waitcnt lgkmcnt(1)
	;;#ASMSTART
	
             v_fmac_f32 v60, v32, v28 
             
	;;#ASMEND
	;;#ASMSTART
	
             v_fmac_f32 v61, v32, v29 
             
	;;#ASMEND
	;; [unrolled: 5-line block ×16, first 2 shown]
	ds_read_b128 v[28:31], v110 offset:22016
	;;#ASMSTART
	
             v_fmac_f32 v56, v32, v20 
             
	;;#ASMEND
	;;#ASMSTART
	
             v_fmac_f32 v57, v32, v21 
             
	;;#ASMEND
	;; [unrolled: 5-line block ×16, first 2 shown]
	ds_read_b128 v[20:23], v110 offset:22272
	ds_read_b128 v[32:35], v51 offset:5888
	s_waitcnt lgkmcnt(2)
	;;#ASMSTART
	
             v_fmac_f32 v92, v24, v28 
             
	;;#ASMEND
	;;#ASMSTART
	
             v_fmac_f32 v93, v24, v29 
             
	;;#ASMEND
	;; [unrolled: 5-line block ×16, first 2 shown]
	s_waitcnt lgkmcnt(1)
	;;#ASMSTART
	
             v_fmac_f32 v88, v24, v20 
             
	;;#ASMEND
	;;#ASMSTART
	
             v_fmac_f32 v89, v24, v21 
             
	;;#ASMEND
	;; [unrolled: 5-line block ×16, first 2 shown]
	ds_read_b128 v[24:27], v51 offset:6144
	s_waitcnt lgkmcnt(1)
	;;#ASMSTART
	
             v_fmac_f32 v60, v32, v28 
             
	;;#ASMEND
	;;#ASMSTART
	
             v_fmac_f32 v61, v32, v29 
             
	;;#ASMEND
	;;#ASMSTART
	
             v_fmac_f32 v58, v32, v30 
             
	;;#ASMEND
	;;#ASMSTART
	
             v_fmac_f32 v59, v32, v31 
             
	;;#ASMEND
	;;#ASMSTART
	
             v_fmac_f32 v44, v33, v28 
             
	;;#ASMEND
	;;#ASMSTART
	
             v_fmac_f32 v45, v33, v29 
             
	;;#ASMEND
	;;#ASMSTART
	
             v_fmac_f32 v42, v33, v30 
             
	;;#ASMEND
	;;#ASMSTART
	
             v_fmac_f32 v43, v33, v31 
             
	;;#ASMEND
	;;#ASMSTART
	
             v_fmac_f32 v102, v34, v28 
             
	;;#ASMEND
	;;#ASMSTART
	
             v_fmac_f32 v103, v34, v29 
             
	;;#ASMEND
	;;#ASMSTART
	
             v_fmac_f32 v100, v34, v30 
             
	;;#ASMEND
	;;#ASMSTART
	
             v_fmac_f32 v101, v34, v31 
             
	;;#ASMEND
	;;#ASMSTART
	
             v_fmac_f32 v118, v35, v28 
             
	;;#ASMEND
	;;#ASMSTART
	
             v_fmac_f32 v119, v35, v29 
             
	;;#ASMEND
	;;#ASMSTART
	
             v_fmac_f32 v116, v35, v30 
             
	;;#ASMEND
	;;#ASMSTART
	
             v_fmac_f32 v117, v35, v31 
             
	;;#ASMEND
	ds_read_b128 v[28:31], v110 offset:22528
	;;#ASMSTART
	
             v_fmac_f32 v56, v32, v20 
             
	;;#ASMEND
	;;#ASMSTART
	
             v_fmac_f32 v57, v32, v21 
             
	;;#ASMEND
	;; [unrolled: 5-line block ×16, first 2 shown]
	ds_read_b128 v[20:23], v110 offset:22784
	ds_read_b128 v[32:35], v51 offset:6400
	s_waitcnt lgkmcnt(2)
	;;#ASMSTART
	
             v_fmac_f32 v92, v24, v28 
             
	;;#ASMEND
	;;#ASMSTART
	
             v_fmac_f32 v93, v24, v29 
             
	;;#ASMEND
	;; [unrolled: 5-line block ×16, first 2 shown]
	s_waitcnt lgkmcnt(1)
	;;#ASMSTART
	
             v_fmac_f32 v88, v24, v20 
             
	;;#ASMEND
	;;#ASMSTART
	
             v_fmac_f32 v89, v24, v21 
             
	;;#ASMEND
	;; [unrolled: 5-line block ×16, first 2 shown]
	ds_read_b128 v[24:27], v51 offset:6656
	s_waitcnt lgkmcnt(1)
	;;#ASMSTART
	
             v_fmac_f32 v60, v32, v28 
             
	;;#ASMEND
	;;#ASMSTART
	
             v_fmac_f32 v61, v32, v29 
             
	;;#ASMEND
	;; [unrolled: 5-line block ×16, first 2 shown]
	ds_read_b128 v[28:31], v110 offset:23040
	;;#ASMSTART
	
             v_fmac_f32 v56, v32, v20 
             
	;;#ASMEND
	;;#ASMSTART
	
             v_fmac_f32 v57, v32, v21 
             
	;;#ASMEND
	;; [unrolled: 5-line block ×16, first 2 shown]
	ds_read_b128 v[20:23], v110 offset:23296
	ds_read_b128 v[32:35], v51 offset:6912
	s_waitcnt lgkmcnt(2)
	;;#ASMSTART
	
             v_fmac_f32 v92, v24, v28 
             
	;;#ASMEND
	;;#ASMSTART
	
             v_fmac_f32 v93, v24, v29 
             
	;;#ASMEND
	;; [unrolled: 5-line block ×16, first 2 shown]
	s_waitcnt lgkmcnt(1)
	;;#ASMSTART
	
             v_fmac_f32 v88, v24, v20 
             
	;;#ASMEND
	;;#ASMSTART
	
             v_fmac_f32 v89, v24, v21 
             
	;;#ASMEND
	;; [unrolled: 5-line block ×16, first 2 shown]
	ds_read_b128 v[24:27], v51 offset:7168
	s_waitcnt lgkmcnt(1)
	;;#ASMSTART
	
             v_fmac_f32 v60, v32, v28 
             
	;;#ASMEND
	;;#ASMSTART
	
             v_fmac_f32 v61, v32, v29 
             
	;;#ASMEND
	;; [unrolled: 5-line block ×16, first 2 shown]
	ds_read_b128 v[28:31], v110 offset:23552
	;;#ASMSTART
	
             v_fmac_f32 v56, v32, v20 
             
	;;#ASMEND
	;;#ASMSTART
	
             v_fmac_f32 v57, v32, v21 
             
	;;#ASMEND
	;; [unrolled: 5-line block ×16, first 2 shown]
	ds_read_b128 v[20:23], v110 offset:23808
	ds_read_b128 v[32:35], v51 offset:7424
	s_waitcnt lgkmcnt(2)
	;;#ASMSTART
	
             v_fmac_f32 v92, v24, v28 
             
	;;#ASMEND
	;;#ASMSTART
	
             v_fmac_f32 v93, v24, v29 
             
	;;#ASMEND
	;; [unrolled: 5-line block ×16, first 2 shown]
	s_waitcnt lgkmcnt(1)
	;;#ASMSTART
	
             v_fmac_f32 v88, v24, v20 
             
	;;#ASMEND
	;;#ASMSTART
	
             v_fmac_f32 v89, v24, v21 
             
	;;#ASMEND
	;; [unrolled: 5-line block ×16, first 2 shown]
	ds_read_b128 v[24:27], v51 offset:7680
	s_waitcnt lgkmcnt(1)
	;;#ASMSTART
	
             v_fmac_f32 v60, v32, v28 
             
	;;#ASMEND
	;;#ASMSTART
	
             v_fmac_f32 v61, v32, v29 
             
	;;#ASMEND
	;; [unrolled: 5-line block ×16, first 2 shown]
	ds_read_b128 v[28:31], v110 offset:24064
	;;#ASMSTART
	
             v_fmac_f32 v56, v32, v20 
             
	;;#ASMEND
	;;#ASMSTART
	
             v_fmac_f32 v57, v32, v21 
             
	;;#ASMEND
	;; [unrolled: 5-line block ×16, first 2 shown]
	ds_read_b128 v[20:23], v110 offset:24320
	ds_read_b128 v[32:35], v51 offset:7936
	v_accvgpr_read_b32 v19, a13
	s_waitcnt lgkmcnt(2)
	;;#ASMSTART
	
             v_fmac_f32 v92, v24, v28 
             
	;;#ASMEND
	;;#ASMSTART
	
             v_fmac_f32 v93, v24, v29 
             
	;;#ASMEND
	;;#ASMSTART
	
             v_fmac_f32 v90, v24, v30 
             
	;;#ASMEND
	;;#ASMSTART
	
             v_fmac_f32 v91, v24, v31 
             
	;;#ASMEND
	;;#ASMSTART
	
             v_fmac_f32 v76, v25, v28 
             
	;;#ASMEND
	;;#ASMSTART
	
             v_fmac_f32 v77, v25, v29 
             
	;;#ASMEND
	;;#ASMSTART
	
             v_fmac_f32 v74, v25, v30 
             
	;;#ASMEND
	;;#ASMSTART
	
             v_fmac_f32 v75, v25, v31 
             
	;;#ASMEND
	;;#ASMSTART
	
             v_fmac_f32 v66, v26, v28 
             
	;;#ASMEND
	;;#ASMSTART
	
             v_fmac_f32 v67, v26, v29 
             
	;;#ASMEND
	;;#ASMSTART
	
             v_fmac_f32 v64, v26, v30 
             
	;;#ASMEND
	;;#ASMSTART
	
             v_fmac_f32 v65, v26, v31 
             
	;;#ASMEND
	;;#ASMSTART
	
             v_fmac_f32 v72, v27, v28 
             
	;;#ASMEND
	;;#ASMSTART
	
             v_fmac_f32 v73, v27, v29 
             
	;;#ASMEND
	;;#ASMSTART
	
             v_fmac_f32 v62, v27, v30 
             
	;;#ASMEND
	;;#ASMSTART
	
             v_fmac_f32 v63, v27, v31 
             
	;;#ASMEND
	s_waitcnt lgkmcnt(1)
	;;#ASMSTART
	
             v_fmac_f32 v88, v24, v20 
             
	;;#ASMEND
	;;#ASMSTART
	
             v_fmac_f32 v89, v24, v21 
             
	;;#ASMEND
	;; [unrolled: 5-line block ×16, first 2 shown]
	s_waitcnt lgkmcnt(0)
	;;#ASMSTART
	
             v_fmac_f32 v60, v32, v28 
             
	;;#ASMEND
	;;#ASMSTART
	
             v_fmac_f32 v61, v32, v29 
             
	;;#ASMEND
	;; [unrolled: 5-line block ×32, first 2 shown]
	ds_write2st64_b32 v19, v14, v15 offset0:2 offset1:4
	ds_write2st64_b32 v19, v52, v38 offset0:6 offset1:8
	;; [unrolled: 1-line block ×3, first 2 shown]
	ds_write_b32 v19, v48 offset:3584
	ds_write2st64_b32 v121, v120, v49 offset0:32 offset1:96
	v_accvgpr_read_b32 v14, a14
	flat_load_dword v15, v[8:9] offset:276
	ds_write2st64_b32 v14, v39, v126 offset0:2 offset1:4
	ds_write2st64_b32 v14, v37, v122 offset0:6 offset1:8
	ds_write2st64_b32 v14, v54, v53 offset0:10 offset1:12
	flat_load_dwordx3 v[30:32], v[8:9] offset:212
	ds_write_b32 v14, v50 offset:3584
	flat_load_dwordx3 v[34:36], v[8:9] offset:228
	flat_load_dwordx3 v[48:50], v[8:9] offset:196
	flat_load_dword v14, v[8:9] offset:128
	flat_load_dword v120, v[8:9] offset:112
	;; [unrolled: 1-line block ×3, first 2 shown]
	flat_load_dwordx2 v[38:39], v[8:9] offset:24
	flat_load_dwordx3 v[52:54], v[8:9] offset:28
	flat_load_dword v33, v[10:11] offset:48
	flat_load_dword v124, v[8:9] offset:260
	;; [unrolled: 1-line block ×3, first 2 shown]
	flat_load_dwordx4 v[20:23], v[8:9] offset:60
	flat_load_dword v28, v[8:9] offset:76
	flat_load_dwordx4 v[24:27], v[8:9] offset:44
	s_mov_b64 s[10:11], exec
	s_waitcnt vmcnt(0) lgkmcnt(0)
	v_mul_lo_u32 v29, v15, 12
	v_add_u32_e32 v125, v29, v123
	v_add_u32_e32 v111, v29, v18
	v_mul_hi_u32 v18, v125, v32
	v_add_u32_e32 v18, v125, v18
	v_lshrrev_b32_e32 v18, v36, v18
	v_mul_hi_u32 v37, v18, v31
	v_mul_lo_u32 v29, v18, v50
	v_add_u32_e32 v37, v18, v37
	v_sub_u32_e32 v50, v125, v29
	v_lshrrev_b32_e32 v37, v35, v37
	v_sub_u32_e32 v29, v50, v55
	v_mul_lo_u32 v49, v37, v49
	v_mul_hi_u32 v55, v37, v30
	v_sub_u32_e32 v49, v18, v49
	v_add_u32_e32 v55, v37, v55
	v_sub_u32_e32 v18, v49, v108
	v_lshrrev_b32_e32 v108, v34, v55
	v_mul_lo_u32 v55, v108, v48
	v_sub_u32_e32 v55, v37, v55
	v_mul_lo_u32 v18, v18, v14
	v_sub_u32_e32 v4, v55, v4
	v_add_u32_e32 v123, v18, v127
	v_sub_u32_e32 v22, v22, v28
	v_sub_u32_e32 v5, v108, v5
	v_mul_lo_u32 v4, v4, v120
	v_cmp_le_i32_e64 s[6:7], v23, v123
	v_cmp_gt_i32_e64 s[8:9], v22, v123
	v_mul_lo_u32 v37, v5, v122
	v_add_u32_e32 v5, v4, v13
	v_cmp_lt_i32_e64 s[4:5], v111, v124
	s_and_b64 s[6:7], s[6:7], s[8:9]
	v_sub_u32_e32 v21, v27, v21
	v_mul_lo_u32 v18, v18, v53
	v_mul_lo_u32 v29, v54, v29
	s_and_b64 s[8:9], s[4:5], s[6:7]
	v_cmp_le_i32_e64 s[4:5], v20, v5
	v_cmp_gt_i32_e64 s[6:7], v21, v5
	v_add_u32_e32 v106, v37, v106
	v_mul_lo_u32 v13, v37, v38
	v_mul_lo_u32 v4, v4, v39
	v_add3_u32 v12, v29, v12, v18
	s_and_b64 s[4:5], s[4:5], s[6:7]
	v_sub_u32_e32 v24, v24, v26
	v_add3_u32 v53, v12, v13, v4
	v_mul_lo_u32 v4, v33, 12
	s_and_b64 s[8:9], s[8:9], s[4:5]
	v_cmp_le_i32_e64 s[4:5], v25, v106
	v_cmp_gt_i32_e64 s[6:7], v24, v106
	v_add_u32_e32 v37, v4, v107
	v_add_u32_e32 v39, v4, v109
	v_accvgpr_read_b32 v4, a9
	s_and_b64 s[4:5], s[4:5], s[6:7]
	v_cmp_lt_i32_e32 vcc, v4, v19
	s_and_b64 s[4:5], s[8:9], s[4:5]
	s_and_b64 s[4:5], vcc, s[4:5]
	v_lshlrev_b32_e32 v4, 2, v53
.LBB15_18:                              ;   Parent Loop BB15_9 Depth=1
                                        ; =>  This Inner Loop Header: Depth=2
	v_readfirstlane_b32 s12, v0
	v_readfirstlane_b32 s13, v1
	;; [unrolled: 1-line block ×4, first 2 shown]
	v_cmp_eq_u64_e64 s[6:7], s[12:13], v[0:1]
	v_cmp_eq_u64_e64 s[8:9], s[14:15], v[94:95]
	s_and_b64 s[6:7], s[6:7], s[8:9]
	s_and_saveexec_b64 s[6:7], s[6:7]
	s_nop 0
	buffer_load_dwordx4 v[26:29], v4, s[12:15], 0 offen
                                        ; implicit-def: $vgpr4
	s_xor_b64 exec, exec, s[6:7]
	s_cbranch_execnz .LBB15_18
; %bb.19:                               ;   in Loop: Header=BB15_9 Depth=1
	s_mov_b64 exec, s[10:11]
	flat_load_dwordx2 v[126:127], v[8:9] offset:200
	flat_load_dwordx2 v[18:19], v[8:9] offset:32
	s_waitcnt vmcnt(0)
	v_cndmask_b32_e64 v4, 0, v29, s[4:5]
	v_accvgpr_write_b32 a15, v4
	v_cndmask_b32_e64 v4, 0, v28, s[4:5]
	v_accvgpr_write_b32 a16, v4
	;; [unrolled: 2-line block ×3, first 2 shown]
	v_lshlrev_b32_e32 v4, 2, v15
	v_add_u32_e32 v111, v4, v111
	v_add_u32_e32 v4, v4, v125
	v_mul_hi_u32 v12, v4, v32
	v_add_u32_e32 v12, v4, v12
	v_lshrrev_b32_e32 v15, v36, v12
	v_mul_hi_u32 v12, v15, v31
	v_add_u32_e32 v12, v15, v12
	v_cndmask_b32_e64 v54, 0, v26, s[4:5]
	v_lshrrev_b32_e32 v26, v35, v12
	v_mul_hi_u32 v12, v26, v30
	v_add_u32_e32 v12, v26, v12
	v_lshrrev_b32_e32 v12, v34, v12
	v_mul_lo_u32 v13, v12, v48
	v_sub_u32_e32 v27, v12, v108
	v_sub_u32_e32 v13, v26, v13
	v_mul_lo_u32 v27, v27, v122
	v_sub_u32_e32 v28, v13, v55
	v_add_u32_e32 v106, v27, v106
	v_mul_lo_u32 v28, v28, v120
	v_cmp_le_i32_e64 s[6:7], v25, v106
	v_cmp_gt_i32_e64 s[8:9], v24, v106
	v_add_u32_e32 v5, v28, v5
	s_and_b64 s[10:11], s[6:7], s[8:9]
	v_cmp_le_i32_e64 s[6:7], v20, v5
	v_cmp_gt_i32_e64 s[8:9], v21, v5
	s_and_b64 s[12:13], s[6:7], s[8:9]
	v_cmp_lt_i32_e64 s[4:5], v111, v124
	v_mul_lo_u32 v27, v27, v38
	v_mul_lo_u32 v24, v28, v52
	s_waitcnt lgkmcnt(0)
	v_mul_lo_u32 v20, v26, v126
	v_sub_u32_e32 v108, v15, v20
	v_sub_u32_e32 v20, v108, v49
	v_mul_lo_u32 v20, v20, v14
	v_mul_lo_u32 v21, v15, v127
	v_add_u32_e32 v14, v20, v123
	v_sub_u32_e32 v55, v4, v21
	v_cmp_le_i32_e64 s[6:7], v23, v14
	v_cmp_gt_i32_e64 s[8:9], v22, v14
	v_sub_u32_e32 v15, v55, v50
	s_and_b64 s[6:7], s[6:7], s[8:9]
	v_mul_lo_u32 v15, v19, v15
	v_mul_lo_u32 v18, v18, v20
	s_and_b64 s[4:5], s[4:5], s[6:7]
	v_add3_u32 v15, v15, v53, v18
	s_and_b64 s[4:5], s[4:5], s[12:13]
	v_add3_u32 v15, v15, v27, v24
	s_and_b64 s[4:5], s[10:11], s[4:5]
	v_lshlrev_b32_e32 v24, 2, v15
	s_and_b64 vcc, vcc, s[4:5]
	s_mov_b64 s[12:13], exec
.LBB15_20:                              ;   Parent Loop BB15_9 Depth=1
                                        ; =>  This Inner Loop Header: Depth=2
	v_readfirstlane_b32 s8, v0
	v_readfirstlane_b32 s9, v1
	v_readfirstlane_b32 s10, v94
	v_readfirstlane_b32 s11, v95
	v_cmp_eq_u64_e64 s[4:5], s[8:9], v[0:1]
	v_cmp_eq_u64_e64 s[6:7], s[10:11], v[94:95]
	s_and_b64 s[4:5], s[4:5], s[6:7]
	s_and_saveexec_b64 s[4:5], s[4:5]
	s_nop 0
	buffer_load_dwordx4 v[20:23], v24, s[8:11], 0 offen
                                        ; implicit-def: $vgpr24
	s_xor_b64 exec, exec, s[4:5]
	s_cbranch_execnz .LBB15_20
; %bb.21:                               ;   in Loop: Header=BB15_9 Depth=1
	s_mov_b64 exec, s[12:13]
	flat_load_dword v24, v[10:11] offset:32
	flat_load_dword v18, v[10:11] offset:20
	v_accvgpr_read_b32 v19, a10
	s_waitcnt vmcnt(0)
	v_cndmask_b32_e32 v48, 0, v23, vcc
	v_cndmask_b32_e32 v52, 0, v22, vcc
	;; [unrolled: 1-line block ×4, first 2 shown]
	v_lshlrev_b32_e32 v25, 2, v39
	s_mov_b64 s[10:11], exec
	s_waitcnt lgkmcnt(0)
	v_cmp_gt_i32_e64 s[4:5], v24, v37
	v_cmp_gt_i32_e32 vcc, v18, v19
	s_and_b64 s[4:5], vcc, s[4:5]
.LBB15_22:                              ;   Parent Loop BB15_9 Depth=1
                                        ; =>  This Inner Loop Header: Depth=2
	v_readfirstlane_b32 s12, v2
	v_readfirstlane_b32 s13, v3
	;; [unrolled: 1-line block ×4, first 2 shown]
	v_cmp_eq_u64_e64 s[6:7], s[12:13], v[2:3]
	v_cmp_eq_u64_e64 s[8:9], s[14:15], v[104:105]
	s_and_b64 s[6:7], s[6:7], s[8:9]
	s_and_saveexec_b64 s[6:7], s[6:7]
	s_nop 0
	buffer_load_dwordx4 v[20:23], v25, s[12:15], 0 offen
                                        ; implicit-def: $vgpr25
	s_xor_b64 exec, exec, s[6:7]
	s_cbranch_execnz .LBB15_22
; %bb.23:                               ;   in Loop: Header=BB15_9 Depth=1
	s_mov_b64 exec, s[10:11]
	v_lshlrev_b32_e32 v18, 2, v33
	v_add_u32_e32 v107, v18, v37
	s_waitcnt vmcnt(0)
	v_cndmask_b32_e64 v126, 0, v23, s[4:5]
	v_cndmask_b32_e64 v127, 0, v22, s[4:5]
	v_cndmask_b32_e64 v123, 0, v21, s[4:5]
	v_cndmask_b32_e64 v124, 0, v20, s[4:5]
	v_add_u32_e32 v109, v18, v39
	v_cmp_gt_i32_e64 s[4:5], v24, v107
	v_lshlrev_b32_e32 v25, 2, v109
	s_and_b64 vcc, vcc, s[4:5]
	s_mov_b64 s[12:13], exec
.LBB15_24:                              ;   Parent Loop BB15_9 Depth=1
                                        ; =>  This Inner Loop Header: Depth=2
	v_readfirstlane_b32 s8, v2
	v_readfirstlane_b32 s9, v3
	;; [unrolled: 1-line block ×4, first 2 shown]
	v_cmp_eq_u64_e64 s[4:5], s[8:9], v[2:3]
	v_cmp_eq_u64_e64 s[6:7], s[10:11], v[104:105]
	s_and_b64 s[4:5], s[4:5], s[6:7]
	s_and_saveexec_b64 s[4:5], s[4:5]
	s_nop 0
	buffer_load_dwordx4 v[20:23], v25, s[8:11], 0 offen
                                        ; implicit-def: $vgpr25
	s_xor_b64 exec, exec, s[4:5]
	s_cbranch_execnz .LBB15_24
; %bb.25:                               ;   in Loop: Header=BB15_9 Depth=1
	s_mov_b64 exec, s[12:13]
	s_waitcnt vmcnt(0)
	v_cndmask_b32_e32 v125, 0, v23, vcc
	v_cndmask_b32_e32 v49, 0, v22, vcc
	s_waitcnt lgkmcnt(0)
	s_barrier
	ds_read_b128 v[24:27], v51 offset:8192
	ds_read_b128 v[28:31], v110 offset:24576
	v_cndmask_b32_e32 v50, 0, v21, vcc
	v_cndmask_b32_e32 v53, 0, v20, vcc
	ds_read_b128 v[20:23], v110 offset:24832
	ds_read_b128 v[32:35], v51 offset:8448
	s_waitcnt lgkmcnt(2)
	;;#ASMSTART
	
             v_fmac_f32 v92, v24, v28 
             
	;;#ASMEND
	;;#ASMSTART
	
             v_fmac_f32 v93, v24, v29 
             
	;;#ASMEND
	;; [unrolled: 5-line block ×16, first 2 shown]
	s_waitcnt lgkmcnt(1)
	;;#ASMSTART
	
             v_fmac_f32 v88, v24, v20 
             
	;;#ASMEND
	;;#ASMSTART
	
             v_fmac_f32 v89, v24, v21 
             
	;;#ASMEND
	;; [unrolled: 5-line block ×16, first 2 shown]
	ds_read_b128 v[24:27], v51 offset:8704
	s_waitcnt lgkmcnt(1)
	;;#ASMSTART
	
             v_fmac_f32 v60, v32, v28 
             
	;;#ASMEND
	;;#ASMSTART
	
             v_fmac_f32 v61, v32, v29 
             
	;;#ASMEND
	;; [unrolled: 5-line block ×16, first 2 shown]
	ds_read_b128 v[28:31], v110 offset:25088
	;;#ASMSTART
	
             v_fmac_f32 v56, v32, v20 
             
	;;#ASMEND
	;;#ASMSTART
	
             v_fmac_f32 v57, v32, v21 
             
	;;#ASMEND
	;; [unrolled: 5-line block ×16, first 2 shown]
	ds_read_b128 v[20:23], v110 offset:25344
	ds_read_b128 v[32:35], v51 offset:8960
	s_waitcnt lgkmcnt(2)
	;;#ASMSTART
	
             v_fmac_f32 v92, v24, v28 
             
	;;#ASMEND
	;;#ASMSTART
	
             v_fmac_f32 v93, v24, v29 
             
	;;#ASMEND
	;; [unrolled: 5-line block ×16, first 2 shown]
	s_waitcnt lgkmcnt(1)
	;;#ASMSTART
	
             v_fmac_f32 v88, v24, v20 
             
	;;#ASMEND
	;;#ASMSTART
	
             v_fmac_f32 v89, v24, v21 
             
	;;#ASMEND
	;; [unrolled: 5-line block ×16, first 2 shown]
	ds_read_b128 v[24:27], v51 offset:9216
	s_waitcnt lgkmcnt(1)
	;;#ASMSTART
	
             v_fmac_f32 v60, v32, v28 
             
	;;#ASMEND
	;;#ASMSTART
	
             v_fmac_f32 v61, v32, v29 
             
	;;#ASMEND
	;; [unrolled: 5-line block ×16, first 2 shown]
	ds_read_b128 v[28:31], v110 offset:25600
	;;#ASMSTART
	
             v_fmac_f32 v56, v32, v20 
             
	;;#ASMEND
	;;#ASMSTART
	
             v_fmac_f32 v57, v32, v21 
             
	;;#ASMEND
	;; [unrolled: 5-line block ×16, first 2 shown]
	ds_read_b128 v[20:23], v110 offset:25856
	ds_read_b128 v[32:35], v51 offset:9472
	s_waitcnt lgkmcnt(2)
	;;#ASMSTART
	
             v_fmac_f32 v92, v24, v28 
             
	;;#ASMEND
	;;#ASMSTART
	
             v_fmac_f32 v93, v24, v29 
             
	;;#ASMEND
	;; [unrolled: 5-line block ×16, first 2 shown]
	s_waitcnt lgkmcnt(1)
	;;#ASMSTART
	
             v_fmac_f32 v88, v24, v20 
             
	;;#ASMEND
	;;#ASMSTART
	
             v_fmac_f32 v89, v24, v21 
             
	;;#ASMEND
	;; [unrolled: 5-line block ×16, first 2 shown]
	ds_read_b128 v[24:27], v51 offset:9728
	s_waitcnt lgkmcnt(1)
	;;#ASMSTART
	
             v_fmac_f32 v60, v32, v28 
             
	;;#ASMEND
	;;#ASMSTART
	
             v_fmac_f32 v61, v32, v29 
             
	;;#ASMEND
	;; [unrolled: 5-line block ×16, first 2 shown]
	ds_read_b128 v[28:31], v110 offset:26112
	;;#ASMSTART
	
             v_fmac_f32 v56, v32, v20 
             
	;;#ASMEND
	;;#ASMSTART
	
             v_fmac_f32 v57, v32, v21 
             
	;;#ASMEND
	;; [unrolled: 5-line block ×16, first 2 shown]
	ds_read_b128 v[20:23], v110 offset:26368
	ds_read_b128 v[32:35], v51 offset:9984
	s_waitcnt lgkmcnt(2)
	;;#ASMSTART
	
             v_fmac_f32 v92, v24, v28 
             
	;;#ASMEND
	;;#ASMSTART
	
             v_fmac_f32 v93, v24, v29 
             
	;;#ASMEND
	;; [unrolled: 5-line block ×16, first 2 shown]
	s_waitcnt lgkmcnt(1)
	;;#ASMSTART
	
             v_fmac_f32 v88, v24, v20 
             
	;;#ASMEND
	;;#ASMSTART
	
             v_fmac_f32 v89, v24, v21 
             
	;;#ASMEND
	;; [unrolled: 5-line block ×16, first 2 shown]
	ds_read_b128 v[24:27], v51 offset:10240
	s_waitcnt lgkmcnt(1)
	;;#ASMSTART
	
             v_fmac_f32 v60, v32, v28 
             
	;;#ASMEND
	;;#ASMSTART
	
             v_fmac_f32 v61, v32, v29 
             
	;;#ASMEND
	;; [unrolled: 5-line block ×16, first 2 shown]
	ds_read_b128 v[28:31], v110 offset:26624
	;;#ASMSTART
	
             v_fmac_f32 v56, v32, v20 
             
	;;#ASMEND
	;;#ASMSTART
	
             v_fmac_f32 v57, v32, v21 
             
	;;#ASMEND
	;; [unrolled: 5-line block ×16, first 2 shown]
	ds_read_b128 v[20:23], v110 offset:26880
	ds_read_b128 v[32:35], v51 offset:10496
	s_waitcnt lgkmcnt(2)
	;;#ASMSTART
	
             v_fmac_f32 v92, v24, v28 
             
	;;#ASMEND
	;;#ASMSTART
	
             v_fmac_f32 v93, v24, v29 
             
	;;#ASMEND
	;; [unrolled: 5-line block ×16, first 2 shown]
	s_waitcnt lgkmcnt(1)
	;;#ASMSTART
	
             v_fmac_f32 v88, v24, v20 
             
	;;#ASMEND
	;;#ASMSTART
	
             v_fmac_f32 v89, v24, v21 
             
	;;#ASMEND
	;;#ASMSTART
	
             v_fmac_f32 v78, v24, v22 
             
	;;#ASMEND
	;;#ASMSTART
	
             v_fmac_f32 v79, v24, v23 
             
	;;#ASMEND
	;;#ASMSTART
	
             v_fmac_f32 v82, v25, v20 
             
	;;#ASMEND
	;;#ASMSTART
	
             v_fmac_f32 v83, v25, v21 
             
	;;#ASMEND
	;;#ASMSTART
	
             v_fmac_f32 v80, v25, v22 
             
	;;#ASMEND
	;;#ASMSTART
	
             v_fmac_f32 v81, v25, v23 
             
	;;#ASMEND
	;;#ASMSTART
	
             v_fmac_f32 v70, v26, v20 
             
	;;#ASMEND
	;;#ASMSTART
	
             v_fmac_f32 v71, v26, v21 
             
	;;#ASMEND
	;;#ASMSTART
	
             v_fmac_f32 v68, v26, v22 
             
	;;#ASMEND
	;;#ASMSTART
	
             v_fmac_f32 v69, v26, v23 
             
	;;#ASMEND
	;;#ASMSTART
	
             v_fmac_f32 v86, v27, v20 
             
	;;#ASMEND
	;;#ASMSTART
	
             v_fmac_f32 v87, v27, v21 
             
	;;#ASMEND
	;;#ASMSTART
	
             v_fmac_f32 v84, v27, v22 
             
	;;#ASMEND
	;;#ASMSTART
	
             v_fmac_f32 v85, v27, v23 
             
	;;#ASMEND
	ds_read_b128 v[24:27], v51 offset:10752
	s_waitcnt lgkmcnt(1)
	;;#ASMSTART
	
             v_fmac_f32 v60, v32, v28 
             
	;;#ASMEND
	;;#ASMSTART
	
             v_fmac_f32 v61, v32, v29 
             
	;;#ASMEND
	;; [unrolled: 5-line block ×16, first 2 shown]
	ds_read_b128 v[28:31], v110 offset:27136
	;;#ASMSTART
	
             v_fmac_f32 v56, v32, v20 
             
	;;#ASMEND
	;;#ASMSTART
	
             v_fmac_f32 v57, v32, v21 
             
	;;#ASMEND
	;; [unrolled: 5-line block ×16, first 2 shown]
	ds_read_b128 v[20:23], v110 offset:27392
	ds_read_b128 v[32:35], v51 offset:11008
	s_waitcnt lgkmcnt(2)
	;;#ASMSTART
	
             v_fmac_f32 v92, v24, v28 
             
	;;#ASMEND
	;;#ASMSTART
	
             v_fmac_f32 v93, v24, v29 
             
	;;#ASMEND
	;; [unrolled: 5-line block ×16, first 2 shown]
	s_waitcnt lgkmcnt(1)
	;;#ASMSTART
	
             v_fmac_f32 v88, v24, v20 
             
	;;#ASMEND
	;;#ASMSTART
	
             v_fmac_f32 v89, v24, v21 
             
	;;#ASMEND
	;; [unrolled: 5-line block ×16, first 2 shown]
	ds_read_b128 v[24:27], v51 offset:11264
	s_waitcnt lgkmcnt(1)
	;;#ASMSTART
	
             v_fmac_f32 v60, v32, v28 
             
	;;#ASMEND
	;;#ASMSTART
	
             v_fmac_f32 v61, v32, v29 
             
	;;#ASMEND
	;; [unrolled: 5-line block ×16, first 2 shown]
	ds_read_b128 v[28:31], v110 offset:27648
	;;#ASMSTART
	
             v_fmac_f32 v56, v32, v20 
             
	;;#ASMEND
	;;#ASMSTART
	
             v_fmac_f32 v57, v32, v21 
             
	;;#ASMEND
	;; [unrolled: 5-line block ×16, first 2 shown]
	ds_read_b128 v[20:23], v110 offset:27904
	ds_read_b128 v[32:35], v51 offset:11520
	s_waitcnt lgkmcnt(2)
	;;#ASMSTART
	
             v_fmac_f32 v92, v24, v28 
             
	;;#ASMEND
	;;#ASMSTART
	
             v_fmac_f32 v93, v24, v29 
             
	;;#ASMEND
	;; [unrolled: 5-line block ×16, first 2 shown]
	s_waitcnt lgkmcnt(1)
	;;#ASMSTART
	
             v_fmac_f32 v88, v24, v20 
             
	;;#ASMEND
	;;#ASMSTART
	
             v_fmac_f32 v89, v24, v21 
             
	;;#ASMEND
	;; [unrolled: 5-line block ×16, first 2 shown]
	ds_read_b128 v[24:27], v51 offset:11776
	s_waitcnt lgkmcnt(1)
	;;#ASMSTART
	
             v_fmac_f32 v60, v32, v28 
             
	;;#ASMEND
	;;#ASMSTART
	
             v_fmac_f32 v61, v32, v29 
             
	;;#ASMEND
	;; [unrolled: 5-line block ×16, first 2 shown]
	ds_read_b128 v[28:31], v110 offset:28160
	;;#ASMSTART
	
             v_fmac_f32 v56, v32, v20 
             
	;;#ASMEND
	;;#ASMSTART
	
             v_fmac_f32 v57, v32, v21 
             
	;;#ASMEND
	;; [unrolled: 5-line block ×16, first 2 shown]
	ds_read_b128 v[20:23], v110 offset:28416
	ds_read_b128 v[32:35], v51 offset:12032
	s_waitcnt lgkmcnt(2)
	;;#ASMSTART
	
             v_fmac_f32 v92, v24, v28 
             
	;;#ASMEND
	;;#ASMSTART
	
             v_fmac_f32 v93, v24, v29 
             
	;;#ASMEND
	;; [unrolled: 5-line block ×16, first 2 shown]
	s_waitcnt lgkmcnt(1)
	;;#ASMSTART
	
             v_fmac_f32 v88, v24, v20 
             
	;;#ASMEND
	;;#ASMSTART
	
             v_fmac_f32 v89, v24, v21 
             
	;;#ASMEND
	;; [unrolled: 5-line block ×16, first 2 shown]
	ds_read_b128 v[24:27], v51 offset:12288
	s_waitcnt lgkmcnt(1)
	;;#ASMSTART
	
             v_fmac_f32 v60, v32, v28 
             
	;;#ASMEND
	;;#ASMSTART
	
             v_fmac_f32 v61, v32, v29 
             
	;;#ASMEND
	;; [unrolled: 5-line block ×16, first 2 shown]
	ds_read_b128 v[28:31], v110 offset:28672
	;;#ASMSTART
	
             v_fmac_f32 v56, v32, v20 
             
	;;#ASMEND
	;;#ASMSTART
	
             v_fmac_f32 v57, v32, v21 
             
	;;#ASMEND
	;; [unrolled: 5-line block ×16, first 2 shown]
	ds_read_b128 v[20:23], v110 offset:28928
	ds_read_b128 v[32:35], v51 offset:12544
	s_waitcnt lgkmcnt(2)
	;;#ASMSTART
	
             v_fmac_f32 v92, v24, v28 
             
	;;#ASMEND
	;;#ASMSTART
	
             v_fmac_f32 v93, v24, v29 
             
	;;#ASMEND
	;; [unrolled: 5-line block ×16, first 2 shown]
	s_waitcnt lgkmcnt(1)
	;;#ASMSTART
	
             v_fmac_f32 v88, v24, v20 
             
	;;#ASMEND
	;;#ASMSTART
	
             v_fmac_f32 v89, v24, v21 
             
	;;#ASMEND
	;; [unrolled: 5-line block ×16, first 2 shown]
	ds_read_b128 v[24:27], v51 offset:12800
	s_waitcnt lgkmcnt(1)
	;;#ASMSTART
	
             v_fmac_f32 v60, v32, v28 
             
	;;#ASMEND
	;;#ASMSTART
	
             v_fmac_f32 v61, v32, v29 
             
	;;#ASMEND
	;;#ASMSTART
	
             v_fmac_f32 v58, v32, v30 
             
	;;#ASMEND
	;;#ASMSTART
	
             v_fmac_f32 v59, v32, v31 
             
	;;#ASMEND
	;;#ASMSTART
	
             v_fmac_f32 v44, v33, v28 
             
	;;#ASMEND
	;;#ASMSTART
	
             v_fmac_f32 v45, v33, v29 
             
	;;#ASMEND
	;;#ASMSTART
	
             v_fmac_f32 v42, v33, v30 
             
	;;#ASMEND
	;;#ASMSTART
	
             v_fmac_f32 v43, v33, v31 
             
	;;#ASMEND
	;;#ASMSTART
	
             v_fmac_f32 v102, v34, v28 
             
	;;#ASMEND
	;;#ASMSTART
	
             v_fmac_f32 v103, v34, v29 
             
	;;#ASMEND
	;;#ASMSTART
	
             v_fmac_f32 v100, v34, v30 
             
	;;#ASMEND
	;;#ASMSTART
	
             v_fmac_f32 v101, v34, v31 
             
	;;#ASMEND
	;;#ASMSTART
	
             v_fmac_f32 v118, v35, v28 
             
	;;#ASMEND
	;;#ASMSTART
	
             v_fmac_f32 v119, v35, v29 
             
	;;#ASMEND
	;;#ASMSTART
	
             v_fmac_f32 v116, v35, v30 
             
	;;#ASMEND
	;;#ASMSTART
	
             v_fmac_f32 v117, v35, v31 
             
	;;#ASMEND
	ds_read_b128 v[28:31], v110 offset:29184
	;;#ASMSTART
	
             v_fmac_f32 v56, v32, v20 
             
	;;#ASMEND
	;;#ASMSTART
	
             v_fmac_f32 v57, v32, v21 
             
	;;#ASMEND
	;; [unrolled: 5-line block ×16, first 2 shown]
	ds_read_b128 v[20:23], v110 offset:29440
	ds_read_b128 v[32:35], v51 offset:13056
	s_waitcnt lgkmcnt(2)
	;;#ASMSTART
	
             v_fmac_f32 v92, v24, v28 
             
	;;#ASMEND
	;;#ASMSTART
	
             v_fmac_f32 v93, v24, v29 
             
	;;#ASMEND
	;; [unrolled: 5-line block ×16, first 2 shown]
	s_waitcnt lgkmcnt(1)
	;;#ASMSTART
	
             v_fmac_f32 v88, v24, v20 
             
	;;#ASMEND
	;;#ASMSTART
	
             v_fmac_f32 v89, v24, v21 
             
	;;#ASMEND
	;; [unrolled: 5-line block ×16, first 2 shown]
	ds_read_b128 v[24:27], v51 offset:13312
	s_waitcnt lgkmcnt(1)
	;;#ASMSTART
	
             v_fmac_f32 v60, v32, v28 
             
	;;#ASMEND
	;;#ASMSTART
	
             v_fmac_f32 v61, v32, v29 
             
	;;#ASMEND
	;;#ASMSTART
	
             v_fmac_f32 v58, v32, v30 
             
	;;#ASMEND
	;;#ASMSTART
	
             v_fmac_f32 v59, v32, v31 
             
	;;#ASMEND
	;;#ASMSTART
	
             v_fmac_f32 v44, v33, v28 
             
	;;#ASMEND
	;;#ASMSTART
	
             v_fmac_f32 v45, v33, v29 
             
	;;#ASMEND
	;;#ASMSTART
	
             v_fmac_f32 v42, v33, v30 
             
	;;#ASMEND
	;;#ASMSTART
	
             v_fmac_f32 v43, v33, v31 
             
	;;#ASMEND
	;;#ASMSTART
	
             v_fmac_f32 v102, v34, v28 
             
	;;#ASMEND
	;;#ASMSTART
	
             v_fmac_f32 v103, v34, v29 
             
	;;#ASMEND
	;;#ASMSTART
	
             v_fmac_f32 v100, v34, v30 
             
	;;#ASMEND
	;;#ASMSTART
	
             v_fmac_f32 v101, v34, v31 
             
	;;#ASMEND
	;;#ASMSTART
	
             v_fmac_f32 v118, v35, v28 
             
	;;#ASMEND
	;;#ASMSTART
	
             v_fmac_f32 v119, v35, v29 
             
	;;#ASMEND
	;;#ASMSTART
	
             v_fmac_f32 v116, v35, v30 
             
	;;#ASMEND
	;;#ASMSTART
	
             v_fmac_f32 v117, v35, v31 
             
	;;#ASMEND
	ds_read_b128 v[28:31], v110 offset:29696
	;;#ASMSTART
	
             v_fmac_f32 v56, v32, v20 
             
	;;#ASMEND
	;;#ASMSTART
	
             v_fmac_f32 v57, v32, v21 
             
	;;#ASMEND
	;; [unrolled: 5-line block ×16, first 2 shown]
	ds_read_b128 v[20:23], v110 offset:29952
	ds_read_b128 v[32:35], v51 offset:13568
	s_waitcnt lgkmcnt(2)
	;;#ASMSTART
	
             v_fmac_f32 v92, v24, v28 
             
	;;#ASMEND
	;;#ASMSTART
	
             v_fmac_f32 v93, v24, v29 
             
	;;#ASMEND
	;; [unrolled: 5-line block ×16, first 2 shown]
	s_waitcnt lgkmcnt(1)
	;;#ASMSTART
	
             v_fmac_f32 v88, v24, v20 
             
	;;#ASMEND
	;;#ASMSTART
	
             v_fmac_f32 v89, v24, v21 
             
	;;#ASMEND
	;; [unrolled: 5-line block ×16, first 2 shown]
	ds_read_b128 v[24:27], v51 offset:13824
	s_waitcnt lgkmcnt(1)
	;;#ASMSTART
	
             v_fmac_f32 v60, v32, v28 
             
	;;#ASMEND
	;;#ASMSTART
	
             v_fmac_f32 v61, v32, v29 
             
	;;#ASMEND
	;; [unrolled: 5-line block ×16, first 2 shown]
	ds_read_b128 v[28:31], v110 offset:30208
	;;#ASMSTART
	
             v_fmac_f32 v56, v32, v20 
             
	;;#ASMEND
	;;#ASMSTART
	
             v_fmac_f32 v57, v32, v21 
             
	;;#ASMEND
	;; [unrolled: 5-line block ×16, first 2 shown]
	ds_read_b128 v[20:23], v110 offset:30464
	ds_read_b128 v[32:35], v51 offset:14080
	s_waitcnt lgkmcnt(2)
	;;#ASMSTART
	
             v_fmac_f32 v92, v24, v28 
             
	;;#ASMEND
	;;#ASMSTART
	
             v_fmac_f32 v93, v24, v29 
             
	;;#ASMEND
	;; [unrolled: 5-line block ×16, first 2 shown]
	s_waitcnt lgkmcnt(1)
	;;#ASMSTART
	
             v_fmac_f32 v88, v24, v20 
             
	;;#ASMEND
	;;#ASMSTART
	
             v_fmac_f32 v89, v24, v21 
             
	;;#ASMEND
	;; [unrolled: 5-line block ×16, first 2 shown]
	ds_read_b128 v[24:27], v51 offset:14336
	s_waitcnt lgkmcnt(1)
	;;#ASMSTART
	
             v_fmac_f32 v60, v32, v28 
             
	;;#ASMEND
	;;#ASMSTART
	
             v_fmac_f32 v61, v32, v29 
             
	;;#ASMEND
	;; [unrolled: 5-line block ×16, first 2 shown]
	ds_read_b128 v[28:31], v110 offset:30720
	;;#ASMSTART
	
             v_fmac_f32 v56, v32, v20 
             
	;;#ASMEND
	;;#ASMSTART
	
             v_fmac_f32 v57, v32, v21 
             
	;;#ASMEND
	;; [unrolled: 5-line block ×16, first 2 shown]
	ds_read_b128 v[20:23], v110 offset:30976
	ds_read_b128 v[32:35], v51 offset:14592
	s_waitcnt lgkmcnt(2)
	;;#ASMSTART
	
             v_fmac_f32 v92, v24, v28 
             
	;;#ASMEND
	;;#ASMSTART
	
             v_fmac_f32 v93, v24, v29 
             
	;;#ASMEND
	;; [unrolled: 5-line block ×16, first 2 shown]
	s_waitcnt lgkmcnt(1)
	;;#ASMSTART
	
             v_fmac_f32 v88, v24, v20 
             
	;;#ASMEND
	;;#ASMSTART
	
             v_fmac_f32 v89, v24, v21 
             
	;;#ASMEND
	;; [unrolled: 5-line block ×16, first 2 shown]
	ds_read_b128 v[24:27], v51 offset:14848
	s_waitcnt lgkmcnt(1)
	;;#ASMSTART
	
             v_fmac_f32 v60, v32, v28 
             
	;;#ASMEND
	;;#ASMSTART
	
             v_fmac_f32 v61, v32, v29 
             
	;;#ASMEND
	;; [unrolled: 5-line block ×16, first 2 shown]
	ds_read_b128 v[28:31], v110 offset:31232
	;;#ASMSTART
	
             v_fmac_f32 v56, v32, v20 
             
	;;#ASMEND
	;;#ASMSTART
	
             v_fmac_f32 v57, v32, v21 
             
	;;#ASMEND
	;; [unrolled: 5-line block ×16, first 2 shown]
	ds_read_b128 v[20:23], v110 offset:31488
	ds_read_b128 v[32:35], v51 offset:15104
	s_waitcnt lgkmcnt(2)
	;;#ASMSTART
	
             v_fmac_f32 v92, v24, v28 
             
	;;#ASMEND
	;;#ASMSTART
	
             v_fmac_f32 v93, v24, v29 
             
	;;#ASMEND
	;; [unrolled: 5-line block ×16, first 2 shown]
	s_waitcnt lgkmcnt(1)
	;;#ASMSTART
	
             v_fmac_f32 v88, v24, v20 
             
	;;#ASMEND
	;;#ASMSTART
	
             v_fmac_f32 v89, v24, v21 
             
	;;#ASMEND
	;; [unrolled: 5-line block ×16, first 2 shown]
	ds_read_b128 v[24:27], v51 offset:15360
	s_waitcnt lgkmcnt(1)
	;;#ASMSTART
	
             v_fmac_f32 v60, v32, v28 
             
	;;#ASMEND
	;;#ASMSTART
	
             v_fmac_f32 v61, v32, v29 
             
	;;#ASMEND
	;; [unrolled: 5-line block ×16, first 2 shown]
	ds_read_b128 v[28:31], v110 offset:31744
	;;#ASMSTART
	
             v_fmac_f32 v56, v32, v20 
             
	;;#ASMEND
	;;#ASMSTART
	
             v_fmac_f32 v57, v32, v21 
             
	;;#ASMEND
	;; [unrolled: 5-line block ×16, first 2 shown]
	ds_read_b128 v[20:23], v110 offset:32000
	ds_read_b128 v[36:39], v51 offset:15616
	s_waitcnt lgkmcnt(2)
	;;#ASMSTART
	
             v_fmac_f32 v92, v24, v28 
             
	;;#ASMEND
	;;#ASMSTART
	
             v_fmac_f32 v93, v24, v29 
             
	;;#ASMEND
	;; [unrolled: 5-line block ×16, first 2 shown]
	s_waitcnt lgkmcnt(1)
	;;#ASMSTART
	
             v_fmac_f32 v88, v24, v20 
             
	;;#ASMEND
	;;#ASMSTART
	
             v_fmac_f32 v89, v24, v21 
             
	;;#ASMEND
	;; [unrolled: 5-line block ×16, first 2 shown]
	ds_read_b128 v[32:35], v51 offset:15872
	s_waitcnt lgkmcnt(1)
	;;#ASMSTART
	
             v_fmac_f32 v60, v36, v28 
             
	;;#ASMEND
	;;#ASMSTART
	
             v_fmac_f32 v61, v36, v29 
             
	;;#ASMEND
	;; [unrolled: 5-line block ×16, first 2 shown]
	ds_read_b128 v[28:31], v110 offset:32256
	;;#ASMSTART
	
             v_fmac_f32 v56, v36, v20 
             
	;;#ASMEND
	;;#ASMSTART
	
             v_fmac_f32 v57, v36, v21 
             
	;;#ASMEND
	;; [unrolled: 5-line block ×16, first 2 shown]
	ds_read_b128 v[20:23], v110 offset:32512
	ds_read_b128 v[24:27], v51 offset:16128
	v_accvgpr_read_b32 v18, a17
	s_waitcnt lgkmcnt(2)
	;;#ASMSTART
	
             v_fmac_f32 v92, v32, v28 
             
	;;#ASMEND
	;;#ASMSTART
	
             v_fmac_f32 v93, v32, v29 
             
	;;#ASMEND
	;; [unrolled: 5-line block ×16, first 2 shown]
	s_waitcnt lgkmcnt(1)
	;;#ASMSTART
	
             v_fmac_f32 v88, v32, v20 
             
	;;#ASMEND
	;;#ASMSTART
	
             v_fmac_f32 v89, v32, v21 
             
	;;#ASMEND
	;; [unrolled: 5-line block ×16, first 2 shown]
	s_waitcnt lgkmcnt(0)
	;;#ASMSTART
	
             v_fmac_f32 v60, v24, v28 
             
	;;#ASMEND
	;;#ASMSTART
	
             v_fmac_f32 v61, v24, v29 
             
	;;#ASMEND
	;; [unrolled: 5-line block ×32, first 2 shown]
	ds_write2st64_b32 v121, v54, v18 offset1:2
	v_accvgpr_read_b32 v18, a15
	v_accvgpr_read_b32 v19, a16
	ds_write2st64_b32 v121, v19, v18 offset0:4 offset1:6
	ds_write2st64_b32 v121, v122, v120 offset0:8 offset1:10
	;; [unrolled: 1-line block ×3, first 2 shown]
	ds_write_b32 v121, v124 offset:16384
	s_add_i32 s26, s26, 32
	v_accvgpr_read_b32 v18, a11
	v_cmp_ge_i32_e32 vcc, s26, v18
	v_accvgpr_read_b32 v19, a12
	s_or_b64 s[16:17], vcc, s[16:17]
	ds_write2st64_b32 v19, v123, v127 offset0:2 offset1:4
	ds_write2st64_b32 v19, v126, v53 offset0:6 offset1:8
	ds_write2st64_b32 v19, v50, v49 offset0:10 offset1:12
	ds_write_b32 v19, v125 offset:3584
	s_andn2_b64 exec, exec, s[16:17]
	s_cbranch_execnz .LBB15_9
; %bb.26:
	s_or_b64 exec, exec, s[16:17]
	s_waitcnt lgkmcnt(0)
	s_barrier
	ds_read_b128 v[8:11], v51
	ds_read_b128 v[20:23], v110 offset:16384
	ds_read_b128 v[0:3], v110 offset:16640
	ds_read_b128 v[24:27], v51 offset:256
	s_waitcnt lgkmcnt(2)
	;;#ASMSTART
	
             v_fmac_f32 v92, v8, v20 
             
	;;#ASMEND
	;;#ASMSTART
	
             v_fmac_f32 v93, v8, v21 
             
	;;#ASMEND
	;; [unrolled: 5-line block ×16, first 2 shown]
	s_waitcnt lgkmcnt(1)
	;;#ASMSTART
	
             v_fmac_f32 v88, v8, v0 
             
	;;#ASMEND
	;;#ASMSTART
	
             v_fmac_f32 v89, v8, v1 
             
	;;#ASMEND
	;; [unrolled: 5-line block ×16, first 2 shown]
	ds_read_b128 v[8:11], v51 offset:512
	s_waitcnt lgkmcnt(1)
	;;#ASMSTART
	
             v_fmac_f32 v60, v24, v20 
             
	;;#ASMEND
	;;#ASMSTART
	
             v_fmac_f32 v61, v24, v21 
             
	;;#ASMEND
	;; [unrolled: 5-line block ×16, first 2 shown]
	ds_read_b128 v[20:23], v110 offset:16896
	;;#ASMSTART
	
             v_fmac_f32 v56, v24, v0 
             
	;;#ASMEND
	;;#ASMSTART
	
             v_fmac_f32 v57, v24, v1 
             
	;;#ASMEND
	;; [unrolled: 5-line block ×16, first 2 shown]
	ds_read_b128 v[0:3], v110 offset:17152
	ds_read_b128 v[24:27], v51 offset:768
	s_waitcnt lgkmcnt(2)
	;;#ASMSTART
	
             v_fmac_f32 v92, v8, v20 
             
	;;#ASMEND
	;;#ASMSTART
	
             v_fmac_f32 v93, v8, v21 
             
	;;#ASMEND
	;; [unrolled: 5-line block ×16, first 2 shown]
	s_waitcnt lgkmcnt(1)
	;;#ASMSTART
	
             v_fmac_f32 v88, v8, v0 
             
	;;#ASMEND
	;;#ASMSTART
	
             v_fmac_f32 v89, v8, v1 
             
	;;#ASMEND
	;; [unrolled: 5-line block ×16, first 2 shown]
	ds_read_b128 v[8:11], v51 offset:1024
	s_waitcnt lgkmcnt(1)
	;;#ASMSTART
	
             v_fmac_f32 v60, v24, v20 
             
	;;#ASMEND
	;;#ASMSTART
	
             v_fmac_f32 v61, v24, v21 
             
	;;#ASMEND
	;; [unrolled: 5-line block ×16, first 2 shown]
	ds_read_b128 v[20:23], v110 offset:17408
	;;#ASMSTART
	
             v_fmac_f32 v56, v24, v0 
             
	;;#ASMEND
	;;#ASMSTART
	
             v_fmac_f32 v57, v24, v1 
             
	;;#ASMEND
	;; [unrolled: 5-line block ×16, first 2 shown]
	ds_read_b128 v[0:3], v110 offset:17664
	ds_read_b128 v[24:27], v51 offset:1280
	s_waitcnt lgkmcnt(2)
	;;#ASMSTART
	
             v_fmac_f32 v92, v8, v20 
             
	;;#ASMEND
	;;#ASMSTART
	
             v_fmac_f32 v93, v8, v21 
             
	;;#ASMEND
	;; [unrolled: 5-line block ×16, first 2 shown]
	s_waitcnt lgkmcnt(1)
	;;#ASMSTART
	
             v_fmac_f32 v88, v8, v0 
             
	;;#ASMEND
	;;#ASMSTART
	
             v_fmac_f32 v89, v8, v1 
             
	;;#ASMEND
	;; [unrolled: 5-line block ×16, first 2 shown]
	ds_read_b128 v[8:11], v51 offset:1536
	s_waitcnt lgkmcnt(1)
	;;#ASMSTART
	
             v_fmac_f32 v60, v24, v20 
             
	;;#ASMEND
	;;#ASMSTART
	
             v_fmac_f32 v61, v24, v21 
             
	;;#ASMEND
	;; [unrolled: 5-line block ×16, first 2 shown]
	ds_read_b128 v[20:23], v110 offset:17920
	;;#ASMSTART
	
             v_fmac_f32 v56, v24, v0 
             
	;;#ASMEND
	;;#ASMSTART
	
             v_fmac_f32 v57, v24, v1 
             
	;;#ASMEND
	;; [unrolled: 5-line block ×16, first 2 shown]
	ds_read_b128 v[0:3], v110 offset:18176
	ds_read_b128 v[24:27], v51 offset:1792
	s_waitcnt lgkmcnt(2)
	;;#ASMSTART
	
             v_fmac_f32 v92, v8, v20 
             
	;;#ASMEND
	;;#ASMSTART
	
             v_fmac_f32 v93, v8, v21 
             
	;;#ASMEND
	;; [unrolled: 5-line block ×16, first 2 shown]
	s_waitcnt lgkmcnt(1)
	;;#ASMSTART
	
             v_fmac_f32 v88, v8, v0 
             
	;;#ASMEND
	;;#ASMSTART
	
             v_fmac_f32 v89, v8, v1 
             
	;;#ASMEND
	;; [unrolled: 5-line block ×16, first 2 shown]
	ds_read_b128 v[8:11], v51 offset:2048
	s_waitcnt lgkmcnt(1)
	;;#ASMSTART
	
             v_fmac_f32 v60, v24, v20 
             
	;;#ASMEND
	;;#ASMSTART
	
             v_fmac_f32 v61, v24, v21 
             
	;;#ASMEND
	;;#ASMSTART
	
             v_fmac_f32 v58, v24, v22 
             
	;;#ASMEND
	;;#ASMSTART
	
             v_fmac_f32 v59, v24, v23 
             
	;;#ASMEND
	;;#ASMSTART
	
             v_fmac_f32 v44, v25, v20 
             
	;;#ASMEND
	;;#ASMSTART
	
             v_fmac_f32 v45, v25, v21 
             
	;;#ASMEND
	;;#ASMSTART
	
             v_fmac_f32 v42, v25, v22 
             
	;;#ASMEND
	;;#ASMSTART
	
             v_fmac_f32 v43, v25, v23 
             
	;;#ASMEND
	;;#ASMSTART
	
             v_fmac_f32 v102, v26, v20 
             
	;;#ASMEND
	;;#ASMSTART
	
             v_fmac_f32 v103, v26, v21 
             
	;;#ASMEND
	;;#ASMSTART
	
             v_fmac_f32 v100, v26, v22 
             
	;;#ASMEND
	;;#ASMSTART
	
             v_fmac_f32 v101, v26, v23 
             
	;;#ASMEND
	;;#ASMSTART
	
             v_fmac_f32 v118, v27, v20 
             
	;;#ASMEND
	;;#ASMSTART
	
             v_fmac_f32 v119, v27, v21 
             
	;;#ASMEND
	;;#ASMSTART
	
             v_fmac_f32 v116, v27, v22 
             
	;;#ASMEND
	;;#ASMSTART
	
             v_fmac_f32 v117, v27, v23 
             
	;;#ASMEND
	ds_read_b128 v[20:23], v110 offset:18432
	;;#ASMSTART
	
             v_fmac_f32 v56, v24, v0 
             
	;;#ASMEND
	;;#ASMSTART
	
             v_fmac_f32 v57, v24, v1 
             
	;;#ASMEND
	;; [unrolled: 5-line block ×16, first 2 shown]
	ds_read_b128 v[0:3], v110 offset:18688
	ds_read_b128 v[24:27], v51 offset:2304
	s_waitcnt lgkmcnt(2)
	;;#ASMSTART
	
             v_fmac_f32 v92, v8, v20 
             
	;;#ASMEND
	;;#ASMSTART
	
             v_fmac_f32 v93, v8, v21 
             
	;;#ASMEND
	;; [unrolled: 5-line block ×16, first 2 shown]
	s_waitcnt lgkmcnt(1)
	;;#ASMSTART
	
             v_fmac_f32 v88, v8, v0 
             
	;;#ASMEND
	;;#ASMSTART
	
             v_fmac_f32 v89, v8, v1 
             
	;;#ASMEND
	;; [unrolled: 5-line block ×16, first 2 shown]
	ds_read_b128 v[8:11], v51 offset:2560
	s_waitcnt lgkmcnt(1)
	;;#ASMSTART
	
             v_fmac_f32 v60, v24, v20 
             
	;;#ASMEND
	;;#ASMSTART
	
             v_fmac_f32 v61, v24, v21 
             
	;;#ASMEND
	;; [unrolled: 5-line block ×16, first 2 shown]
	ds_read_b128 v[20:23], v110 offset:18944
	;;#ASMSTART
	
             v_fmac_f32 v56, v24, v0 
             
	;;#ASMEND
	;;#ASMSTART
	
             v_fmac_f32 v57, v24, v1 
             
	;;#ASMEND
	;; [unrolled: 5-line block ×16, first 2 shown]
	ds_read_b128 v[0:3], v110 offset:19200
	ds_read_b128 v[24:27], v51 offset:2816
	s_waitcnt lgkmcnt(2)
	;;#ASMSTART
	
             v_fmac_f32 v92, v8, v20 
             
	;;#ASMEND
	;;#ASMSTART
	
             v_fmac_f32 v93, v8, v21 
             
	;;#ASMEND
	;;#ASMSTART
	
             v_fmac_f32 v90, v8, v22 
             
	;;#ASMEND
	;;#ASMSTART
	
             v_fmac_f32 v91, v8, v23 
             
	;;#ASMEND
	;;#ASMSTART
	
             v_fmac_f32 v76, v9, v20 
             
	;;#ASMEND
	;;#ASMSTART
	
             v_fmac_f32 v77, v9, v21 
             
	;;#ASMEND
	;;#ASMSTART
	
             v_fmac_f32 v74, v9, v22 
             
	;;#ASMEND
	;;#ASMSTART
	
             v_fmac_f32 v75, v9, v23 
             
	;;#ASMEND
	;;#ASMSTART
	
             v_fmac_f32 v66, v10, v20 
             
	;;#ASMEND
	;;#ASMSTART
	
             v_fmac_f32 v67, v10, v21 
             
	;;#ASMEND
	;;#ASMSTART
	
             v_fmac_f32 v64, v10, v22 
             
	;;#ASMEND
	;;#ASMSTART
	
             v_fmac_f32 v65, v10, v23 
             
	;;#ASMEND
	;;#ASMSTART
	
             v_fmac_f32 v72, v11, v20 
             
	;;#ASMEND
	;;#ASMSTART
	
             v_fmac_f32 v73, v11, v21 
             
	;;#ASMEND
	;;#ASMSTART
	
             v_fmac_f32 v62, v11, v22 
             
	;;#ASMEND
	;;#ASMSTART
	
             v_fmac_f32 v63, v11, v23 
             
	;;#ASMEND
	s_waitcnt lgkmcnt(1)
	;;#ASMSTART
	
             v_fmac_f32 v88, v8, v0 
             
	;;#ASMEND
	;;#ASMSTART
	
             v_fmac_f32 v89, v8, v1 
             
	;;#ASMEND
	;;#ASMSTART
	
             v_fmac_f32 v78, v8, v2 
             
	;;#ASMEND
	;;#ASMSTART
	
             v_fmac_f32 v79, v8, v3 
             
	;;#ASMEND
	;;#ASMSTART
	
             v_fmac_f32 v82, v9, v0 
             
	;;#ASMEND
	;;#ASMSTART
	
             v_fmac_f32 v83, v9, v1 
             
	;;#ASMEND
	;;#ASMSTART
	
             v_fmac_f32 v80, v9, v2 
             
	;;#ASMEND
	;;#ASMSTART
	
             v_fmac_f32 v81, v9, v3 
             
	;;#ASMEND
	;;#ASMSTART
	
             v_fmac_f32 v70, v10, v0 
             
	;;#ASMEND
	;;#ASMSTART
	
             v_fmac_f32 v71, v10, v1 
             
	;;#ASMEND
	;;#ASMSTART
	
             v_fmac_f32 v68, v10, v2 
             
	;;#ASMEND
	;;#ASMSTART
	
             v_fmac_f32 v69, v10, v3 
             
	;;#ASMEND
	;;#ASMSTART
	
             v_fmac_f32 v86, v11, v0 
             
	;;#ASMEND
	;;#ASMSTART
	
             v_fmac_f32 v87, v11, v1 
             
	;;#ASMEND
	;;#ASMSTART
	
             v_fmac_f32 v84, v11, v2 
             
	;;#ASMEND
	;;#ASMSTART
	
             v_fmac_f32 v85, v11, v3 
             
	;;#ASMEND
	ds_read_b128 v[8:11], v51 offset:3072
	s_waitcnt lgkmcnt(1)
	;;#ASMSTART
	
             v_fmac_f32 v60, v24, v20 
             
	;;#ASMEND
	;;#ASMSTART
	
             v_fmac_f32 v61, v24, v21 
             
	;;#ASMEND
	;; [unrolled: 5-line block ×16, first 2 shown]
	ds_read_b128 v[20:23], v110 offset:19456
	;;#ASMSTART
	
             v_fmac_f32 v56, v24, v0 
             
	;;#ASMEND
	;;#ASMSTART
	
             v_fmac_f32 v57, v24, v1 
             
	;;#ASMEND
	;; [unrolled: 5-line block ×16, first 2 shown]
	ds_read_b128 v[0:3], v110 offset:19712
	ds_read_b128 v[24:27], v51 offset:3328
	s_waitcnt lgkmcnt(2)
	;;#ASMSTART
	
             v_fmac_f32 v92, v8, v20 
             
	;;#ASMEND
	;;#ASMSTART
	
             v_fmac_f32 v93, v8, v21 
             
	;;#ASMEND
	;; [unrolled: 5-line block ×16, first 2 shown]
	s_waitcnt lgkmcnt(1)
	;;#ASMSTART
	
             v_fmac_f32 v88, v8, v0 
             
	;;#ASMEND
	;;#ASMSTART
	
             v_fmac_f32 v89, v8, v1 
             
	;;#ASMEND
	;;#ASMSTART
	
             v_fmac_f32 v78, v8, v2 
             
	;;#ASMEND
	;;#ASMSTART
	
             v_fmac_f32 v79, v8, v3 
             
	;;#ASMEND
	;;#ASMSTART
	
             v_fmac_f32 v82, v9, v0 
             
	;;#ASMEND
	;;#ASMSTART
	
             v_fmac_f32 v83, v9, v1 
             
	;;#ASMEND
	;;#ASMSTART
	
             v_fmac_f32 v80, v9, v2 
             
	;;#ASMEND
	;;#ASMSTART
	
             v_fmac_f32 v81, v9, v3 
             
	;;#ASMEND
	;;#ASMSTART
	
             v_fmac_f32 v70, v10, v0 
             
	;;#ASMEND
	;;#ASMSTART
	
             v_fmac_f32 v71, v10, v1 
             
	;;#ASMEND
	;;#ASMSTART
	
             v_fmac_f32 v68, v10, v2 
             
	;;#ASMEND
	;;#ASMSTART
	
             v_fmac_f32 v69, v10, v3 
             
	;;#ASMEND
	;;#ASMSTART
	
             v_fmac_f32 v86, v11, v0 
             
	;;#ASMEND
	;;#ASMSTART
	
             v_fmac_f32 v87, v11, v1 
             
	;;#ASMEND
	;;#ASMSTART
	
             v_fmac_f32 v84, v11, v2 
             
	;;#ASMEND
	;;#ASMSTART
	
             v_fmac_f32 v85, v11, v3 
             
	;;#ASMEND
	ds_read_b128 v[8:11], v51 offset:3584
	s_waitcnt lgkmcnt(1)
	;;#ASMSTART
	
             v_fmac_f32 v60, v24, v20 
             
	;;#ASMEND
	;;#ASMSTART
	
             v_fmac_f32 v61, v24, v21 
             
	;;#ASMEND
	;; [unrolled: 5-line block ×16, first 2 shown]
	ds_read_b128 v[20:23], v110 offset:19968
	;;#ASMSTART
	
             v_fmac_f32 v56, v24, v0 
             
	;;#ASMEND
	;;#ASMSTART
	
             v_fmac_f32 v57, v24, v1 
             
	;;#ASMEND
	;; [unrolled: 5-line block ×16, first 2 shown]
	ds_read_b128 v[0:3], v110 offset:20224
	ds_read_b128 v[24:27], v51 offset:3840
	s_waitcnt lgkmcnt(2)
	;;#ASMSTART
	
             v_fmac_f32 v92, v8, v20 
             
	;;#ASMEND
	;;#ASMSTART
	
             v_fmac_f32 v93, v8, v21 
             
	;;#ASMEND
	;; [unrolled: 5-line block ×16, first 2 shown]
	s_waitcnt lgkmcnt(1)
	;;#ASMSTART
	
             v_fmac_f32 v88, v8, v0 
             
	;;#ASMEND
	;;#ASMSTART
	
             v_fmac_f32 v89, v8, v1 
             
	;;#ASMEND
	;; [unrolled: 5-line block ×16, first 2 shown]
	ds_read_b128 v[8:11], v51 offset:4096
	s_waitcnt lgkmcnt(1)
	;;#ASMSTART
	
             v_fmac_f32 v60, v24, v20 
             
	;;#ASMEND
	;;#ASMSTART
	
             v_fmac_f32 v61, v24, v21 
             
	;;#ASMEND
	;; [unrolled: 5-line block ×16, first 2 shown]
	ds_read_b128 v[20:23], v110 offset:20480
	;;#ASMSTART
	
             v_fmac_f32 v56, v24, v0 
             
	;;#ASMEND
	;;#ASMSTART
	
             v_fmac_f32 v57, v24, v1 
             
	;;#ASMEND
	;; [unrolled: 5-line block ×16, first 2 shown]
	ds_read_b128 v[0:3], v110 offset:20736
	ds_read_b128 v[24:27], v51 offset:4352
	s_waitcnt lgkmcnt(2)
	;;#ASMSTART
	
             v_fmac_f32 v92, v8, v20 
             
	;;#ASMEND
	;;#ASMSTART
	
             v_fmac_f32 v93, v8, v21 
             
	;;#ASMEND
	;; [unrolled: 5-line block ×16, first 2 shown]
	s_waitcnt lgkmcnt(1)
	;;#ASMSTART
	
             v_fmac_f32 v88, v8, v0 
             
	;;#ASMEND
	;;#ASMSTART
	
             v_fmac_f32 v89, v8, v1 
             
	;;#ASMEND
	;; [unrolled: 5-line block ×16, first 2 shown]
	ds_read_b128 v[8:11], v51 offset:4608
	s_waitcnt lgkmcnt(1)
	;;#ASMSTART
	
             v_fmac_f32 v60, v24, v20 
             
	;;#ASMEND
	;;#ASMSTART
	
             v_fmac_f32 v61, v24, v21 
             
	;;#ASMEND
	;; [unrolled: 5-line block ×16, first 2 shown]
	ds_read_b128 v[20:23], v110 offset:20992
	;;#ASMSTART
	
             v_fmac_f32 v56, v24, v0 
             
	;;#ASMEND
	;;#ASMSTART
	
             v_fmac_f32 v57, v24, v1 
             
	;;#ASMEND
	;; [unrolled: 5-line block ×16, first 2 shown]
	ds_read_b128 v[0:3], v110 offset:21248
	ds_read_b128 v[24:27], v51 offset:4864
	s_waitcnt lgkmcnt(2)
	;;#ASMSTART
	
             v_fmac_f32 v92, v8, v20 
             
	;;#ASMEND
	;;#ASMSTART
	
             v_fmac_f32 v93, v8, v21 
             
	;;#ASMEND
	;; [unrolled: 5-line block ×16, first 2 shown]
	s_waitcnt lgkmcnt(1)
	;;#ASMSTART
	
             v_fmac_f32 v88, v8, v0 
             
	;;#ASMEND
	;;#ASMSTART
	
             v_fmac_f32 v89, v8, v1 
             
	;;#ASMEND
	;; [unrolled: 5-line block ×16, first 2 shown]
	ds_read_b128 v[8:11], v51 offset:5120
	s_waitcnt lgkmcnt(1)
	;;#ASMSTART
	
             v_fmac_f32 v60, v24, v20 
             
	;;#ASMEND
	;;#ASMSTART
	
             v_fmac_f32 v61, v24, v21 
             
	;;#ASMEND
	;; [unrolled: 5-line block ×16, first 2 shown]
	ds_read_b128 v[20:23], v110 offset:21504
	;;#ASMSTART
	
             v_fmac_f32 v56, v24, v0 
             
	;;#ASMEND
	;;#ASMSTART
	
             v_fmac_f32 v57, v24, v1 
             
	;;#ASMEND
	;;#ASMSTART
	
             v_fmac_f32 v46, v24, v2 
             
	;;#ASMEND
	;;#ASMSTART
	
             v_fmac_f32 v47, v24, v3 
             
	;;#ASMEND
	;;#ASMSTART
	
             v_fmac_f32 v98, v25, v0 
             
	;;#ASMEND
	;;#ASMSTART
	
             v_fmac_f32 v99, v25, v1 
             
	;;#ASMEND
	;;#ASMSTART
	
             v_fmac_f32 v96, v25, v2 
             
	;;#ASMEND
	;;#ASMSTART
	
             v_fmac_f32 v97, v25, v3 
             
	;;#ASMEND
	;;#ASMSTART
	
             v_fmac_f32 v114, v26, v0 
             
	;;#ASMEND
	;;#ASMSTART
	
             v_fmac_f32 v115, v26, v1 
             
	;;#ASMEND
	;;#ASMSTART
	
             v_fmac_f32 v112, v26, v2 
             
	;;#ASMEND
	;;#ASMSTART
	
             v_fmac_f32 v113, v26, v3 
             
	;;#ASMEND
	;;#ASMSTART
	
             v_fmac_f32 v16, v27, v0 
             
	;;#ASMEND
	;;#ASMSTART
	
             v_fmac_f32 v17, v27, v1 
             
	;;#ASMEND
	;;#ASMSTART
	
             v_fmac_f32 v40, v27, v2 
             
	;;#ASMEND
	;;#ASMSTART
	
             v_fmac_f32 v41, v27, v3 
             
	;;#ASMEND
	ds_read_b128 v[0:3], v110 offset:21760
	ds_read_b128 v[24:27], v51 offset:5376
	s_waitcnt lgkmcnt(2)
	;;#ASMSTART
	
             v_fmac_f32 v92, v8, v20 
             
	;;#ASMEND
	;;#ASMSTART
	
             v_fmac_f32 v93, v8, v21 
             
	;;#ASMEND
	;; [unrolled: 5-line block ×16, first 2 shown]
	s_waitcnt lgkmcnt(1)
	;;#ASMSTART
	
             v_fmac_f32 v88, v8, v0 
             
	;;#ASMEND
	;;#ASMSTART
	
             v_fmac_f32 v89, v8, v1 
             
	;;#ASMEND
	;; [unrolled: 5-line block ×16, first 2 shown]
	ds_read_b128 v[8:11], v51 offset:5632
	s_waitcnt lgkmcnt(1)
	;;#ASMSTART
	
             v_fmac_f32 v60, v24, v20 
             
	;;#ASMEND
	;;#ASMSTART
	
             v_fmac_f32 v61, v24, v21 
             
	;;#ASMEND
	;; [unrolled: 5-line block ×16, first 2 shown]
	ds_read_b128 v[20:23], v110 offset:22016
	;;#ASMSTART
	
             v_fmac_f32 v56, v24, v0 
             
	;;#ASMEND
	;;#ASMSTART
	
             v_fmac_f32 v57, v24, v1 
             
	;;#ASMEND
	;; [unrolled: 5-line block ×16, first 2 shown]
	ds_read_b128 v[0:3], v110 offset:22272
	ds_read_b128 v[24:27], v51 offset:5888
	s_waitcnt lgkmcnt(2)
	;;#ASMSTART
	
             v_fmac_f32 v92, v8, v20 
             
	;;#ASMEND
	;;#ASMSTART
	
             v_fmac_f32 v93, v8, v21 
             
	;;#ASMEND
	;; [unrolled: 5-line block ×16, first 2 shown]
	s_waitcnt lgkmcnt(1)
	;;#ASMSTART
	
             v_fmac_f32 v88, v8, v0 
             
	;;#ASMEND
	;;#ASMSTART
	
             v_fmac_f32 v89, v8, v1 
             
	;;#ASMEND
	;; [unrolled: 5-line block ×16, first 2 shown]
	ds_read_b128 v[8:11], v51 offset:6144
	s_waitcnt lgkmcnt(1)
	;;#ASMSTART
	
             v_fmac_f32 v60, v24, v20 
             
	;;#ASMEND
	;;#ASMSTART
	
             v_fmac_f32 v61, v24, v21 
             
	;;#ASMEND
	;; [unrolled: 5-line block ×16, first 2 shown]
	ds_read_b128 v[20:23], v110 offset:22528
	;;#ASMSTART
	
             v_fmac_f32 v56, v24, v0 
             
	;;#ASMEND
	;;#ASMSTART
	
             v_fmac_f32 v57, v24, v1 
             
	;;#ASMEND
	;; [unrolled: 5-line block ×16, first 2 shown]
	ds_read_b128 v[0:3], v110 offset:22784
	ds_read_b128 v[24:27], v51 offset:6400
	s_waitcnt lgkmcnt(2)
	;;#ASMSTART
	
             v_fmac_f32 v92, v8, v20 
             
	;;#ASMEND
	;;#ASMSTART
	
             v_fmac_f32 v93, v8, v21 
             
	;;#ASMEND
	;; [unrolled: 5-line block ×16, first 2 shown]
	s_waitcnt lgkmcnt(1)
	;;#ASMSTART
	
             v_fmac_f32 v88, v8, v0 
             
	;;#ASMEND
	;;#ASMSTART
	
             v_fmac_f32 v89, v8, v1 
             
	;;#ASMEND
	;; [unrolled: 5-line block ×16, first 2 shown]
	ds_read_b128 v[8:11], v51 offset:6656
	s_waitcnt lgkmcnt(1)
	;;#ASMSTART
	
             v_fmac_f32 v60, v24, v20 
             
	;;#ASMEND
	;;#ASMSTART
	
             v_fmac_f32 v61, v24, v21 
             
	;;#ASMEND
	;; [unrolled: 5-line block ×16, first 2 shown]
	ds_read_b128 v[20:23], v110 offset:23040
	;;#ASMSTART
	
             v_fmac_f32 v56, v24, v0 
             
	;;#ASMEND
	;;#ASMSTART
	
             v_fmac_f32 v57, v24, v1 
             
	;;#ASMEND
	;; [unrolled: 5-line block ×16, first 2 shown]
	ds_read_b128 v[0:3], v110 offset:23296
	ds_read_b128 v[24:27], v51 offset:6912
	s_waitcnt lgkmcnt(2)
	;;#ASMSTART
	
             v_fmac_f32 v92, v8, v20 
             
	;;#ASMEND
	;;#ASMSTART
	
             v_fmac_f32 v93, v8, v21 
             
	;;#ASMEND
	;; [unrolled: 5-line block ×16, first 2 shown]
	s_waitcnt lgkmcnt(1)
	;;#ASMSTART
	
             v_fmac_f32 v88, v8, v0 
             
	;;#ASMEND
	;;#ASMSTART
	
             v_fmac_f32 v89, v8, v1 
             
	;;#ASMEND
	;; [unrolled: 5-line block ×16, first 2 shown]
	ds_read_b128 v[8:11], v51 offset:7168
	s_waitcnt lgkmcnt(1)
	;;#ASMSTART
	
             v_fmac_f32 v60, v24, v20 
             
	;;#ASMEND
	;;#ASMSTART
	
             v_fmac_f32 v61, v24, v21 
             
	;;#ASMEND
	;;#ASMSTART
	
             v_fmac_f32 v58, v24, v22 
             
	;;#ASMEND
	;;#ASMSTART
	
             v_fmac_f32 v59, v24, v23 
             
	;;#ASMEND
	;;#ASMSTART
	
             v_fmac_f32 v44, v25, v20 
             
	;;#ASMEND
	;;#ASMSTART
	
             v_fmac_f32 v45, v25, v21 
             
	;;#ASMEND
	;;#ASMSTART
	
             v_fmac_f32 v42, v25, v22 
             
	;;#ASMEND
	;;#ASMSTART
	
             v_fmac_f32 v43, v25, v23 
             
	;;#ASMEND
	;;#ASMSTART
	
             v_fmac_f32 v102, v26, v20 
             
	;;#ASMEND
	;;#ASMSTART
	
             v_fmac_f32 v103, v26, v21 
             
	;;#ASMEND
	;;#ASMSTART
	
             v_fmac_f32 v100, v26, v22 
             
	;;#ASMEND
	;;#ASMSTART
	
             v_fmac_f32 v101, v26, v23 
             
	;;#ASMEND
	;;#ASMSTART
	
             v_fmac_f32 v118, v27, v20 
             
	;;#ASMEND
	;;#ASMSTART
	
             v_fmac_f32 v119, v27, v21 
             
	;;#ASMEND
	;;#ASMSTART
	
             v_fmac_f32 v116, v27, v22 
             
	;;#ASMEND
	;;#ASMSTART
	
             v_fmac_f32 v117, v27, v23 
             
	;;#ASMEND
	ds_read_b128 v[20:23], v110 offset:23552
	;;#ASMSTART
	
             v_fmac_f32 v56, v24, v0 
             
	;;#ASMEND
	;;#ASMSTART
	
             v_fmac_f32 v57, v24, v1 
             
	;;#ASMEND
	;;#ASMSTART
	
             v_fmac_f32 v46, v24, v2 
             
	;;#ASMEND
	;;#ASMSTART
	
             v_fmac_f32 v47, v24, v3 
             
	;;#ASMEND
	;;#ASMSTART
	
             v_fmac_f32 v98, v25, v0 
             
	;;#ASMEND
	;;#ASMSTART
	
             v_fmac_f32 v99, v25, v1 
             
	;;#ASMEND
	;;#ASMSTART
	
             v_fmac_f32 v96, v25, v2 
             
	;;#ASMEND
	;;#ASMSTART
	
             v_fmac_f32 v97, v25, v3 
             
	;;#ASMEND
	;;#ASMSTART
	
             v_fmac_f32 v114, v26, v0 
             
	;;#ASMEND
	;;#ASMSTART
	
             v_fmac_f32 v115, v26, v1 
             
	;;#ASMEND
	;;#ASMSTART
	
             v_fmac_f32 v112, v26, v2 
             
	;;#ASMEND
	;;#ASMSTART
	
             v_fmac_f32 v113, v26, v3 
             
	;;#ASMEND
	;;#ASMSTART
	
             v_fmac_f32 v16, v27, v0 
             
	;;#ASMEND
	;;#ASMSTART
	
             v_fmac_f32 v17, v27, v1 
             
	;;#ASMEND
	;;#ASMSTART
	
             v_fmac_f32 v40, v27, v2 
             
	;;#ASMEND
	;;#ASMSTART
	
             v_fmac_f32 v41, v27, v3 
             
	;;#ASMEND
	ds_read_b128 v[0:3], v110 offset:23808
	ds_read_b128 v[24:27], v51 offset:7424
	s_waitcnt lgkmcnt(2)
	;;#ASMSTART
	
             v_fmac_f32 v92, v8, v20 
             
	;;#ASMEND
	;;#ASMSTART
	
             v_fmac_f32 v93, v8, v21 
             
	;;#ASMEND
	;; [unrolled: 5-line block ×16, first 2 shown]
	s_waitcnt lgkmcnt(1)
	;;#ASMSTART
	
             v_fmac_f32 v88, v8, v0 
             
	;;#ASMEND
	;;#ASMSTART
	
             v_fmac_f32 v89, v8, v1 
             
	;;#ASMEND
	;; [unrolled: 5-line block ×16, first 2 shown]
	ds_read_b128 v[8:11], v51 offset:7680
	s_waitcnt lgkmcnt(1)
	;;#ASMSTART
	
             v_fmac_f32 v60, v24, v20 
             
	;;#ASMEND
	;;#ASMSTART
	
             v_fmac_f32 v61, v24, v21 
             
	;;#ASMEND
	;; [unrolled: 5-line block ×16, first 2 shown]
	ds_read_b128 v[20:23], v110 offset:24064
	;;#ASMSTART
	
             v_fmac_f32 v56, v24, v0 
             
	;;#ASMEND
	;;#ASMSTART
	
             v_fmac_f32 v57, v24, v1 
             
	;;#ASMEND
	;; [unrolled: 5-line block ×16, first 2 shown]
	ds_read_b128 v[0:3], v110 offset:24320
	ds_read_b128 v[24:27], v51 offset:7936
	s_waitcnt lgkmcnt(2)
	;;#ASMSTART
	
             v_fmac_f32 v92, v8, v20 
             
	;;#ASMEND
	;;#ASMSTART
	
             v_fmac_f32 v93, v8, v21 
             
	;;#ASMEND
	;; [unrolled: 5-line block ×16, first 2 shown]
	s_waitcnt lgkmcnt(1)
	;;#ASMSTART
	
             v_fmac_f32 v88, v8, v0 
             
	;;#ASMEND
	;;#ASMSTART
	
             v_fmac_f32 v89, v8, v1 
             
	;;#ASMEND
	;; [unrolled: 5-line block ×16, first 2 shown]
	s_waitcnt lgkmcnt(0)
	;;#ASMSTART
	
             v_fmac_f32 v60, v24, v20 
             
	;;#ASMEND
	;;#ASMSTART
	
             v_fmac_f32 v61, v24, v21 
             
	;;#ASMEND
	;; [unrolled: 5-line block ×30, first 2 shown]
	v_accvgpr_read_b32 v0, a6
	v_accvgpr_read_b32 v1, a7
	;;#ASMSTART
	
             v_fmac_f32 v40, v27, v2 
             
	;;#ASMEND
	;;#ASMSTART
	
             v_fmac_f32 v41, v27, v3 
             
	;;#ASMEND
	flat_load_dwordx2 v[38:39], v[0:1] offset:8
	flat_load_dword v10, v[0:1] offset:32
	flat_load_dword v4, v[0:1] offset:20
	s_nop 0
	flat_load_dword v1, v[0:1] offset:72
	v_accvgpr_read_b32 v0, a5
	v_lshl_add_u32 v14, s25, 7, v0
	v_accvgpr_read_b32 v0, a8
	v_lshl_add_u32 v94, s24, 7, v0
	v_accvgpr_read_b32 v105, a3
	v_accvgpr_read_b32 v104, a2
	v_mov_b32_e32 v107, 0x20000
	s_mov_b64 s[16:17], exec
	s_waitcnt vmcnt(0) lgkmcnt(0)
	v_mul_lo_u32 v0, v38, v94
	v_cmp_gt_i32_e32 vcc, v10, v14
	v_cmp_gt_i32_e64 s[6:7], v4, v94
	v_mad_u64_u32 v[8:9], s[4:5], v39, v14, v[0:1]
	s_and_b64 s[4:5], s[6:7], vcc
	v_lshlrev_b32_e32 v106, 2, v1
	v_lshlrev_b32_e32 v5, 2, v8
.LBB15_27:                              ; =>This Inner Loop Header: Depth=1
	v_readfirstlane_b32 s12, v104
	v_readfirstlane_b32 s13, v105
	;; [unrolled: 1-line block ×4, first 2 shown]
	v_cmp_eq_u64_e64 s[8:9], s[12:13], v[104:105]
	v_cmp_eq_u64_e64 s[10:11], s[14:15], v[106:107]
	s_and_b64 s[8:9], s[8:9], s[10:11]
	s_and_saveexec_b64 s[8:9], s[8:9]
	s_nop 0
	buffer_load_dwordx4 v[0:3], v5, s[12:15], 0 offen
                                        ; implicit-def: $vgpr5
	s_xor_b64 exec, exec, s[8:9]
	s_cbranch_execnz .LBB15_27
; %bb.28:
	s_mov_b64 exec, s[16:17]
	s_waitcnt vmcnt(0)
	v_cndmask_b32_e64 v3, 0, v3, s[4:5]
	v_cndmask_b32_e64 v2, 0, v2, s[4:5]
	;; [unrolled: 1-line block ×4, first 2 shown]
	v_add_u32_e32 v15, 64, v14
	v_pk_add_f32 v[0:1], v[92:93], v[0:1]
	v_pk_add_f32 v[2:3], v[90:91], v[2:3]
	v_lshlrev_b32_e32 v5, 6, v39
	v_cmp_gt_i32_e64 s[4:5], v10, v15
	v_max_f32_e32 v51, 0, v3
	v_max_f32_e32 v50, 0, v2
	;; [unrolled: 1-line block ×4, first 2 shown]
	s_and_b64 s[6:7], s[6:7], s[4:5]
	v_add_lshl_u32 v9, v8, v5, 2
	s_mov_b64 s[16:17], exec
.LBB15_29:                              ; =>This Inner Loop Header: Depth=1
	v_readfirstlane_b32 s12, v104
	v_readfirstlane_b32 s13, v105
	;; [unrolled: 1-line block ×4, first 2 shown]
	v_cmp_eq_u64_e64 s[8:9], s[12:13], v[104:105]
	v_cmp_eq_u64_e64 s[10:11], s[14:15], v[106:107]
	s_and_b64 s[8:9], s[8:9], s[10:11]
	s_and_saveexec_b64 s[8:9], s[8:9]
	s_nop 0
	buffer_load_dwordx4 v[0:3], v9, s[12:15], 0 offen
                                        ; implicit-def: $vgpr9
	s_xor_b64 exec, exec, s[8:9]
	s_cbranch_execnz .LBB15_29
; %bb.30:
	s_mov_b64 exec, s[16:17]
	s_waitcnt vmcnt(0)
	v_cndmask_b32_e64 v3, 0, v3, s[6:7]
	v_cndmask_b32_e64 v2, 0, v2, s[6:7]
	;; [unrolled: 1-line block ×4, first 2 shown]
	v_pk_add_f32 v[2:3], v[78:79], v[2:3]
	v_or_b32_e32 v78, 1, v94
	v_pk_add_f32 v[0:1], v[88:89], v[0:1]
	v_add_u32_e32 v8, v8, v38
	v_cmp_gt_i32_e64 s[6:7], v4, v78
	v_max_f32_e32 v55, 0, v3
	v_max_f32_e32 v54, 0, v2
	v_max_f32_e32 v53, 0, v1
	v_max_f32_e32 v52, 0, v0
	s_and_b64 s[8:9], s[6:7], vcc
	v_lshlrev_b32_e32 v9, 2, v8
	s_mov_b64 s[14:15], exec
.LBB15_31:                              ; =>This Inner Loop Header: Depth=1
	v_readfirstlane_b32 s16, v104
	v_readfirstlane_b32 s17, v105
	;; [unrolled: 1-line block ×4, first 2 shown]
	v_cmp_eq_u64_e64 s[10:11], s[16:17], v[104:105]
	v_cmp_eq_u64_e64 s[12:13], s[18:19], v[106:107]
	s_and_b64 s[10:11], s[10:11], s[12:13]
	s_and_saveexec_b64 s[10:11], s[10:11]
	s_nop 0
	buffer_load_dwordx4 v[0:3], v9, s[16:19], 0 offen
                                        ; implicit-def: $vgpr9
	s_xor_b64 exec, exec, s[10:11]
	s_cbranch_execnz .LBB15_31
; %bb.32:
	s_mov_b64 exec, s[14:15]
	s_waitcnt vmcnt(0)
	v_cndmask_b32_e64 v3, 0, v3, s[8:9]
	v_cndmask_b32_e64 v2, 0, v2, s[8:9]
	;; [unrolled: 1-line block ×4, first 2 shown]
	v_pk_add_f32 v[0:1], v[76:77], v[0:1]
	v_pk_add_f32 v[2:3], v[74:75], v[2:3]
	v_max_f32_e32 v25, 0, v3
	v_max_f32_e32 v24, 0, v2
	;; [unrolled: 1-line block ×4, first 2 shown]
	s_and_b64 s[6:7], s[6:7], s[4:5]
	v_add_lshl_u32 v9, v8, v5, 2
	s_mov_b64 s[16:17], exec
.LBB15_33:                              ; =>This Inner Loop Header: Depth=1
	v_readfirstlane_b32 s12, v104
	v_readfirstlane_b32 s13, v105
	;; [unrolled: 1-line block ×4, first 2 shown]
	v_cmp_eq_u64_e64 s[8:9], s[12:13], v[104:105]
	v_cmp_eq_u64_e64 s[10:11], s[14:15], v[106:107]
	s_and_b64 s[8:9], s[8:9], s[10:11]
	s_and_saveexec_b64 s[8:9], s[8:9]
	s_nop 0
	buffer_load_dwordx4 v[0:3], v9, s[12:15], 0 offen
                                        ; implicit-def: $vgpr9
	s_xor_b64 exec, exec, s[8:9]
	s_cbranch_execnz .LBB15_33
; %bb.34:
	s_mov_b64 exec, s[16:17]
	s_waitcnt vmcnt(0)
	v_cndmask_b32_e64 v3, 0, v3, s[6:7]
	v_cndmask_b32_e64 v2, 0, v2, s[6:7]
	;; [unrolled: 1-line block ×4, first 2 shown]
	v_or_b32_e32 v74, 2, v94
	v_pk_add_f32 v[0:1], v[82:83], v[0:1]
	v_pk_add_f32 v[2:3], v[80:81], v[2:3]
	v_add_u32_e32 v8, v8, v38
	v_cmp_gt_i32_e64 s[6:7], v4, v74
	v_max_f32_e32 v83, 0, v3
	v_max_f32_e32 v82, 0, v2
	;; [unrolled: 1-line block ×4, first 2 shown]
	s_and_b64 s[8:9], s[6:7], vcc
	v_lshlrev_b32_e32 v9, 2, v8
	s_mov_b64 s[14:15], exec
.LBB15_35:                              ; =>This Inner Loop Header: Depth=1
	v_readfirstlane_b32 s16, v104
	v_readfirstlane_b32 s17, v105
	;; [unrolled: 1-line block ×4, first 2 shown]
	v_cmp_eq_u64_e64 s[10:11], s[16:17], v[104:105]
	v_cmp_eq_u64_e64 s[12:13], s[18:19], v[106:107]
	s_and_b64 s[10:11], s[10:11], s[12:13]
	s_and_saveexec_b64 s[10:11], s[10:11]
	s_nop 0
	buffer_load_dwordx4 v[0:3], v9, s[16:19], 0 offen
                                        ; implicit-def: $vgpr9
	s_xor_b64 exec, exec, s[10:11]
	s_cbranch_execnz .LBB15_35
; %bb.36:
	s_mov_b64 exec, s[14:15]
	s_waitcnt vmcnt(0)
	v_cndmask_b32_e64 v3, 0, v3, s[8:9]
	v_cndmask_b32_e64 v2, 0, v2, s[8:9]
	;; [unrolled: 1-line block ×4, first 2 shown]
	v_pk_add_f32 v[0:1], v[66:67], v[0:1]
	v_pk_add_f32 v[2:3], v[64:65], v[2:3]
	v_max_f32_e32 v67, 0, v3
	v_max_f32_e32 v66, 0, v2
	;; [unrolled: 1-line block ×4, first 2 shown]
	s_and_b64 s[6:7], s[6:7], s[4:5]
	v_add_lshl_u32 v9, v8, v5, 2
	s_mov_b64 s[16:17], exec
.LBB15_37:                              ; =>This Inner Loop Header: Depth=1
	v_readfirstlane_b32 s12, v104
	v_readfirstlane_b32 s13, v105
	;; [unrolled: 1-line block ×4, first 2 shown]
	v_cmp_eq_u64_e64 s[8:9], s[12:13], v[104:105]
	v_cmp_eq_u64_e64 s[10:11], s[14:15], v[106:107]
	s_and_b64 s[8:9], s[8:9], s[10:11]
	s_and_saveexec_b64 s[8:9], s[8:9]
	s_nop 0
	buffer_load_dwordx4 v[0:3], v9, s[12:15], 0 offen
                                        ; implicit-def: $vgpr9
	s_xor_b64 exec, exec, s[8:9]
	s_cbranch_execnz .LBB15_37
; %bb.38:
	s_mov_b64 exec, s[16:17]
	s_waitcnt vmcnt(0)
	v_cndmask_b32_e64 v3, 0, v3, s[6:7]
	v_cndmask_b32_e64 v2, 0, v2, s[6:7]
	;; [unrolled: 1-line block ×4, first 2 shown]
	v_or_b32_e32 v75, 3, v94
	v_pk_add_f32 v[0:1], v[70:71], v[0:1]
	v_pk_add_f32 v[2:3], v[68:69], v[2:3]
	v_add_u32_e32 v8, v8, v38
	v_cmp_gt_i32_e64 s[6:7], v4, v75
	v_max_f32_e32 v71, 0, v3
	v_max_f32_e32 v70, 0, v2
	;; [unrolled: 1-line block ×4, first 2 shown]
	s_and_b64 s[8:9], s[6:7], vcc
	v_lshlrev_b32_e32 v9, 2, v8
	s_mov_b64 s[14:15], exec
.LBB15_39:                              ; =>This Inner Loop Header: Depth=1
	v_readfirstlane_b32 s16, v104
	v_readfirstlane_b32 s17, v105
	;; [unrolled: 1-line block ×4, first 2 shown]
	v_cmp_eq_u64_e64 s[10:11], s[16:17], v[104:105]
	v_cmp_eq_u64_e64 s[12:13], s[18:19], v[106:107]
	s_and_b64 s[10:11], s[10:11], s[12:13]
	s_and_saveexec_b64 s[10:11], s[10:11]
	s_nop 0
	buffer_load_dwordx4 v[0:3], v9, s[16:19], 0 offen
                                        ; implicit-def: $vgpr9
	s_xor_b64 exec, exec, s[10:11]
	s_cbranch_execnz .LBB15_39
; %bb.40:
	s_mov_b64 exec, s[14:15]
	s_waitcnt vmcnt(0)
	v_cndmask_b32_e64 v3, 0, v3, s[8:9]
	v_cndmask_b32_e64 v2, 0, v2, s[8:9]
	;; [unrolled: 1-line block ×4, first 2 shown]
	v_pk_add_f32 v[0:1], v[72:73], v[0:1]
	v_pk_add_f32 v[2:3], v[62:63], v[2:3]
	v_max_f32_e32 v37, 0, v3
	v_max_f32_e32 v36, 0, v2
	;; [unrolled: 1-line block ×4, first 2 shown]
	s_and_b64 s[6:7], s[6:7], s[4:5]
	v_add_lshl_u32 v9, v8, v5, 2
	s_mov_b64 s[16:17], exec
.LBB15_41:                              ; =>This Inner Loop Header: Depth=1
	v_readfirstlane_b32 s12, v104
	v_readfirstlane_b32 s13, v105
	;; [unrolled: 1-line block ×4, first 2 shown]
	v_cmp_eq_u64_e64 s[8:9], s[12:13], v[104:105]
	v_cmp_eq_u64_e64 s[10:11], s[14:15], v[106:107]
	s_and_b64 s[8:9], s[8:9], s[10:11]
	s_and_saveexec_b64 s[8:9], s[8:9]
	s_nop 0
	buffer_load_dwordx4 v[0:3], v9, s[12:15], 0 offen
                                        ; implicit-def: $vgpr9
	s_xor_b64 exec, exec, s[8:9]
	s_cbranch_execnz .LBB15_41
; %bb.42:
	s_mov_b64 exec, s[16:17]
	s_waitcnt vmcnt(0)
	v_cndmask_b32_e64 v3, 0, v3, s[6:7]
	v_cndmask_b32_e64 v2, 0, v2, s[6:7]
	;; [unrolled: 1-line block ×4, first 2 shown]
	v_add_u32_e32 v39, 64, v94
	v_mad_u64_u32 v[26:27], s[6:7], v38, 61, v[8:9]
	v_pk_add_f32 v[0:1], v[86:87], v[0:1]
	v_pk_add_f32 v[2:3], v[84:85], v[2:3]
	v_cmp_gt_i32_e64 s[6:7], v4, v39
	v_max_f32_e32 v87, 0, v3
	v_max_f32_e32 v86, 0, v2
	;; [unrolled: 1-line block ×4, first 2 shown]
	s_and_b64 s[8:9], s[6:7], vcc
	v_lshlrev_b32_e32 v8, 2, v26
	s_mov_b64 s[14:15], exec
.LBB15_43:                              ; =>This Inner Loop Header: Depth=1
	v_readfirstlane_b32 s16, v104
	v_readfirstlane_b32 s17, v105
	;; [unrolled: 1-line block ×4, first 2 shown]
	v_cmp_eq_u64_e64 s[10:11], s[16:17], v[104:105]
	v_cmp_eq_u64_e64 s[12:13], s[18:19], v[106:107]
	s_and_b64 s[10:11], s[10:11], s[12:13]
	s_and_saveexec_b64 s[10:11], s[10:11]
	s_nop 0
	buffer_load_dwordx4 v[0:3], v8, s[16:19], 0 offen
                                        ; implicit-def: $vgpr8
	s_xor_b64 exec, exec, s[10:11]
	s_cbranch_execnz .LBB15_43
; %bb.44:
	s_mov_b64 exec, s[14:15]
	s_waitcnt vmcnt(0)
	v_cndmask_b32_e64 v3, 0, v3, s[8:9]
	v_cndmask_b32_e64 v2, 0, v2, s[8:9]
	;; [unrolled: 1-line block ×4, first 2 shown]
	v_pk_add_f32 v[0:1], v[60:61], v[0:1]
	v_pk_add_f32 v[2:3], v[58:59], v[2:3]
	v_max_f32_e32 v3, 0, v3
	v_max_f32_e32 v2, 0, v2
	;; [unrolled: 1-line block ×4, first 2 shown]
	s_and_b64 s[6:7], s[6:7], s[4:5]
	v_add_lshl_u32 v12, v26, v5, 2
	s_mov_b64 s[16:17], exec
.LBB15_45:                              ; =>This Inner Loop Header: Depth=1
	v_readfirstlane_b32 s12, v104
	v_readfirstlane_b32 s13, v105
	;; [unrolled: 1-line block ×4, first 2 shown]
	v_cmp_eq_u64_e64 s[8:9], s[12:13], v[104:105]
	v_cmp_eq_u64_e64 s[10:11], s[14:15], v[106:107]
	s_and_b64 s[8:9], s[8:9], s[10:11]
	s_and_saveexec_b64 s[8:9], s[8:9]
	s_nop 0
	buffer_load_dwordx4 v[8:11], v12, s[12:15], 0 offen
                                        ; implicit-def: $vgpr12
	s_xor_b64 exec, exec, s[8:9]
	s_cbranch_execnz .LBB15_45
; %bb.46:
	s_mov_b64 exec, s[16:17]
	s_waitcnt vmcnt(0)
	v_cndmask_b32_e64 v11, 0, v11, s[6:7]
	v_cndmask_b32_e64 v10, 0, v10, s[6:7]
	;; [unrolled: 1-line block ×4, first 2 shown]
	v_pk_add_f32 v[8:9], v[56:57], v[8:9]
	v_pk_add_f32 v[10:11], v[46:47], v[10:11]
	v_add_u32_e32 v46, 0x41, v94
	v_max_f32_e32 v12, 0, v10
	v_max_f32_e32 v10, 0, v8
	v_add_u32_e32 v8, v26, v38
	v_cmp_gt_i32_e64 s[6:7], v4, v46
	v_max_f32_e32 v13, 0, v11
	v_max_f32_e32 v11, 0, v9
	s_and_b64 s[8:9], s[6:7], vcc
	v_lshlrev_b32_e32 v9, 2, v8
	s_mov_b64 s[14:15], exec
.LBB15_47:                              ; =>This Inner Loop Header: Depth=1
	v_readfirstlane_b32 s16, v104
	v_readfirstlane_b32 s17, v105
	;; [unrolled: 1-line block ×4, first 2 shown]
	v_cmp_eq_u64_e64 s[10:11], s[16:17], v[104:105]
	v_cmp_eq_u64_e64 s[12:13], s[18:19], v[106:107]
	s_and_b64 s[10:11], s[10:11], s[12:13]
	s_and_saveexec_b64 s[10:11], s[10:11]
	s_nop 0
	buffer_load_dwordx4 v[26:29], v9, s[16:19], 0 offen
                                        ; implicit-def: $vgpr9
	s_xor_b64 exec, exec, s[10:11]
	s_cbranch_execnz .LBB15_47
; %bb.48:
	s_mov_b64 exec, s[14:15]
	s_waitcnt vmcnt(0)
	v_cndmask_b32_e64 v19, 0, v29, s[8:9]
	v_cndmask_b32_e64 v18, 0, v28, s[8:9]
	;; [unrolled: 1-line block ×4, first 2 shown]
	v_pk_add_f32 v[20:21], v[44:45], v[20:21]
	v_pk_add_f32 v[18:19], v[42:43], v[18:19]
	v_max_f32_e32 v29, 0, v19
	v_max_f32_e32 v28, 0, v18
	;; [unrolled: 1-line block ×4, first 2 shown]
	s_and_b64 s[6:7], s[6:7], s[4:5]
	v_add_lshl_u32 v9, v8, v5, 2
	s_mov_b64 s[16:17], exec
.LBB15_49:                              ; =>This Inner Loop Header: Depth=1
	v_readfirstlane_b32 s12, v104
	v_readfirstlane_b32 s13, v105
	;; [unrolled: 1-line block ×4, first 2 shown]
	v_cmp_eq_u64_e64 s[8:9], s[12:13], v[104:105]
	v_cmp_eq_u64_e64 s[10:11], s[14:15], v[106:107]
	s_and_b64 s[8:9], s[8:9], s[10:11]
	s_and_saveexec_b64 s[8:9], s[8:9]
	s_nop 0
	buffer_load_dwordx4 v[30:33], v9, s[12:15], 0 offen
                                        ; implicit-def: $vgpr9
	s_xor_b64 exec, exec, s[8:9]
	s_cbranch_execnz .LBB15_49
; %bb.50:
	s_mov_b64 exec, s[16:17]
	s_waitcnt vmcnt(0)
	v_cndmask_b32_e64 v19, 0, v33, s[6:7]
	v_cndmask_b32_e64 v18, 0, v32, s[6:7]
	;; [unrolled: 1-line block ×4, first 2 shown]
	v_add_u32_e32 v42, 0x42, v94
	v_pk_add_f32 v[20:21], v[98:99], v[20:21]
	v_pk_add_f32 v[18:19], v[96:97], v[18:19]
	v_add_u32_e32 v8, v8, v38
	v_cmp_gt_i32_e64 s[6:7], v4, v42
	v_max_f32_e32 v33, 0, v19
	v_max_f32_e32 v32, 0, v18
	v_max_f32_e32 v31, 0, v21
	v_max_f32_e32 v30, 0, v20
	s_and_b64 s[8:9], s[6:7], vcc
	v_lshlrev_b32_e32 v9, 2, v8
	s_mov_b64 s[14:15], exec
.LBB15_51:                              ; =>This Inner Loop Header: Depth=1
	v_readfirstlane_b32 s16, v104
	v_readfirstlane_b32 s17, v105
	;; [unrolled: 1-line block ×4, first 2 shown]
	v_cmp_eq_u64_e64 s[10:11], s[16:17], v[104:105]
	v_cmp_eq_u64_e64 s[12:13], s[18:19], v[106:107]
	s_and_b64 s[10:11], s[10:11], s[12:13]
	s_and_saveexec_b64 s[10:11], s[10:11]
	s_nop 0
	buffer_load_dwordx4 v[96:99], v9, s[16:19], 0 offen
                                        ; implicit-def: $vgpr9
	s_xor_b64 exec, exec, s[10:11]
	s_cbranch_execnz .LBB15_51
; %bb.52:
	s_mov_b64 exec, s[14:15]
	s_waitcnt vmcnt(0)
	v_cndmask_b32_e64 v19, 0, v99, s[8:9]
	v_cndmask_b32_e64 v18, 0, v98, s[8:9]
	;; [unrolled: 1-line block ×4, first 2 shown]
	v_pk_add_f32 v[20:21], v[102:103], v[20:21]
	v_pk_add_f32 v[18:19], v[100:101], v[18:19]
	v_max_f32_e32 v99, 0, v19
	v_max_f32_e32 v98, 0, v18
	;; [unrolled: 1-line block ×4, first 2 shown]
	s_and_b64 s[6:7], s[6:7], s[4:5]
	v_add_lshl_u32 v9, v8, v5, 2
	s_mov_b64 s[16:17], exec
.LBB15_53:                              ; =>This Inner Loop Header: Depth=1
	v_readfirstlane_b32 s12, v104
	v_readfirstlane_b32 s13, v105
	;; [unrolled: 1-line block ×4, first 2 shown]
	v_cmp_eq_u64_e64 s[8:9], s[12:13], v[104:105]
	v_cmp_eq_u64_e64 s[10:11], s[14:15], v[106:107]
	s_and_b64 s[8:9], s[8:9], s[10:11]
	s_and_saveexec_b64 s[8:9], s[8:9]
	s_nop 0
	buffer_load_dwordx4 v[100:103], v9, s[12:15], 0 offen
                                        ; implicit-def: $vgpr9
	s_xor_b64 exec, exec, s[8:9]
	s_cbranch_execnz .LBB15_53
; %bb.54:
	s_mov_b64 exec, s[16:17]
	s_waitcnt vmcnt(0)
	v_cndmask_b32_e64 v19, 0, v103, s[6:7]
	v_cndmask_b32_e64 v18, 0, v102, s[6:7]
	;; [unrolled: 1-line block ×4, first 2 shown]
	v_add_u32_e32 v43, 0x43, v94
	v_pk_add_f32 v[20:21], v[114:115], v[20:21]
	v_pk_add_f32 v[18:19], v[112:113], v[18:19]
	v_add_u32_e32 v8, v8, v38
	v_cmp_gt_i32_e64 s[6:7], v4, v43
	v_max_f32_e32 v103, 0, v19
	v_max_f32_e32 v102, 0, v18
	;; [unrolled: 1-line block ×4, first 2 shown]
	s_and_b64 vcc, s[6:7], vcc
	v_lshlrev_b32_e32 v4, 2, v8
	s_mov_b64 s[16:17], exec
.LBB15_55:                              ; =>This Inner Loop Header: Depth=1
	v_readfirstlane_b32 s12, v104
	v_readfirstlane_b32 s13, v105
	;; [unrolled: 1-line block ×4, first 2 shown]
	v_cmp_eq_u64_e64 s[8:9], s[12:13], v[104:105]
	v_cmp_eq_u64_e64 s[10:11], s[14:15], v[106:107]
	s_and_b64 s[8:9], s[8:9], s[10:11]
	s_and_saveexec_b64 s[8:9], s[8:9]
	s_nop 0
	buffer_load_dwordx4 v[112:115], v4, s[12:15], 0 offen
                                        ; implicit-def: $vgpr4
	s_xor_b64 exec, exec, s[8:9]
	s_cbranch_execnz .LBB15_55
; %bb.56:
	s_mov_b64 exec, s[16:17]
	s_waitcnt vmcnt(0)
	v_cndmask_b32_e32 v19, 0, v115, vcc
	v_cndmask_b32_e32 v18, 0, v114, vcc
	;; [unrolled: 1-line block ×4, first 2 shown]
	v_pk_add_f32 v[20:21], v[118:119], v[20:21]
	v_pk_add_f32 v[18:19], v[116:117], v[18:19]
	v_max_f32_e32 v115, 0, v19
	v_max_f32_e32 v114, 0, v18
	;; [unrolled: 1-line block ×4, first 2 shown]
	s_and_b64 vcc, s[6:7], s[4:5]
	v_add_lshl_u32 v4, v8, v5, 2
	s_mov_b64 s[12:13], exec
.LBB15_57:                              ; =>This Inner Loop Header: Depth=1
	v_readfirstlane_b32 s8, v104
	v_readfirstlane_b32 s9, v105
	;; [unrolled: 1-line block ×4, first 2 shown]
	v_cmp_eq_u64_e64 s[4:5], s[8:9], v[104:105]
	v_cmp_eq_u64_e64 s[6:7], s[10:11], v[106:107]
	s_and_b64 s[4:5], s[4:5], s[6:7]
	s_and_saveexec_b64 s[4:5], s[4:5]
	s_nop 0
	buffer_load_dwordx4 v[116:119], v4, s[8:11], 0 offen
                                        ; implicit-def: $vgpr104_vgpr105_vgpr106_vgpr107
                                        ; implicit-def: $vgpr4
	s_xor_b64 exec, exec, s[4:5]
	s_cbranch_execnz .LBB15_57
; %bb.58:
	s_mov_b64 exec, s[12:13]
	v_accvgpr_read_b32 v9, a1
	v_accvgpr_read_b32 v8, a0
	flat_load_dwordx2 v[4:5], v[8:9] offset:8
	flat_load_dword v38, v[8:9] offset:32
	flat_load_dword v44, v[8:9] offset:20
	s_waitcnt vmcnt(0)
	v_cndmask_b32_e32 v19, 0, v119, vcc
	v_cndmask_b32_e32 v18, 0, v118, vcc
	;; [unrolled: 1-line block ×4, first 2 shown]
	v_bfrev_b32_e32 v116, 1
	v_accvgpr_read_b32 v8, a4
	v_pk_add_f32 v[16:17], v[16:17], v[20:21]
	v_pk_add_f32 v[18:19], v[40:41], v[18:19]
	v_lshlrev_b32_e32 v8, 2, v8
	v_mov_b32_e32 v9, 0x20000
	v_max_f32_e32 v19, 0, v19
	v_max_f32_e32 v18, 0, v18
	;; [unrolled: 1-line block ×4, first 2 shown]
	s_waitcnt lgkmcnt(0)
	v_mul_lo_u32 v4, v4, v94
	v_cmp_gt_i32_e32 vcc, v38, v14
	v_cmp_gt_i32_e64 s[4:5], v44, v94
	v_mad_u64_u32 v[4:5], s[6:7], v5, v14, v[4:5]
	s_and_b64 s[4:5], s[4:5], vcc
	v_cndmask_b32_e64 v5, v116, 0, s[4:5]
	v_lshl_add_u32 v5, v4, 2, v5
	s_mov_b64 s[6:7], exec
.LBB15_59:                              ; =>This Inner Loop Header: Depth=1
	v_readfirstlane_b32 s8, v6
	v_readfirstlane_b32 s9, v7
	;; [unrolled: 1-line block ×4, first 2 shown]
	v_cmp_eq_u64_e32 vcc, s[8:9], v[6:7]
	v_cmp_eq_u64_e64 s[4:5], s[10:11], v[8:9]
	s_and_b64 s[4:5], vcc, s[4:5]
	s_and_saveexec_b64 s[4:5], s[4:5]
	s_nop 0
	buffer_store_dwordx4 v[48:51], v5, s[8:11], 0 offen
                                        ; implicit-def: $vgpr48_vgpr49_vgpr50_vgpr51
                                        ; implicit-def: $vgpr5
	s_xor_b64 exec, exec, s[4:5]
	s_cbranch_execnz .LBB15_59
; %bb.60:
	s_mov_b64 exec, s[6:7]
	v_accvgpr_read_b32 v49, a1
	v_accvgpr_read_b32 v48, a0
	flat_load_dword v5, v[48:49] offset:12
	flat_load_dword v20, v[48:49] offset:32
	;; [unrolled: 1-line block ×3, first 2 shown]
	v_bfrev_b32_e32 v38, 1
	s_mov_b64 s[6:7], exec
	s_waitcnt vmcnt(0) lgkmcnt(0)
	v_lshl_add_u32 v4, v5, 6, v4
	v_cmp_gt_i32_e32 vcc, v20, v15
	v_cmp_gt_i32_e64 s[4:5], v21, v94
	s_and_b64 s[4:5], s[4:5], vcc
	v_cndmask_b32_e64 v5, v38, 0, s[4:5]
	v_lshl_add_u32 v5, v4, 2, v5
.LBB15_61:                              ; =>This Inner Loop Header: Depth=1
	v_readfirstlane_b32 s8, v6
	v_readfirstlane_b32 s9, v7
	;; [unrolled: 1-line block ×4, first 2 shown]
	v_cmp_eq_u64_e32 vcc, s[8:9], v[6:7]
	v_cmp_eq_u64_e64 s[4:5], s[10:11], v[8:9]
	s_and_b64 s[4:5], vcc, s[4:5]
	s_and_saveexec_b64 s[4:5], s[4:5]
	s_nop 0
	buffer_store_dwordx4 v[52:55], v5, s[8:11], 0 offen
                                        ; implicit-def: $vgpr52_vgpr53_vgpr54_vgpr55
                                        ; implicit-def: $vgpr5
	s_xor_b64 exec, exec, s[4:5]
	s_cbranch_execnz .LBB15_61
; %bb.62:
	s_mov_b64 exec, s[6:7]
	flat_load_dword v5, v[48:49] offset:8
	flat_load_dword v20, v[48:49] offset:32
	;; [unrolled: 1-line block ×3, first 2 shown]
	v_bfrev_b32_e32 v38, 1
	s_mov_b64 s[6:7], exec
	s_waitcnt vmcnt(0) lgkmcnt(0)
	v_add_u32_e32 v4, v5, v4
	v_cmp_gt_i32_e32 vcc, v20, v15
	v_cmp_gt_i32_e64 s[4:5], v21, v78
	s_and_b64 s[4:5], s[4:5], vcc
	v_cndmask_b32_e64 v5, v38, 0, s[4:5]
	v_lshl_add_u32 v5, v4, 2, v5
.LBB15_63:                              ; =>This Inner Loop Header: Depth=1
	v_readfirstlane_b32 s8, v6
	v_readfirstlane_b32 s9, v7
	;; [unrolled: 1-line block ×4, first 2 shown]
	v_cmp_eq_u64_e32 vcc, s[8:9], v[6:7]
	v_cmp_eq_u64_e64 s[4:5], s[10:11], v[8:9]
	s_and_b64 s[4:5], vcc, s[4:5]
	s_and_saveexec_b64 s[4:5], s[4:5]
	s_nop 0
	buffer_store_dwordx4 v[80:83], v5, s[8:11], 0 offen
                                        ; implicit-def: $vgpr80_vgpr81_vgpr82_vgpr83
                                        ; implicit-def: $vgpr5
	s_xor_b64 exec, exec, s[4:5]
	s_cbranch_execnz .LBB15_63
; %bb.64:
	s_mov_b64 exec, s[6:7]
	flat_load_dword v5, v[48:49] offset:12
	flat_load_dword v20, v[48:49] offset:32
	;; [unrolled: 1-line block ×3, first 2 shown]
	v_bfrev_b32_e32 v38, 1
	s_mov_b64 s[6:7], exec
	s_waitcnt vmcnt(0) lgkmcnt(0)
	v_lshlrev_b32_e32 v5, 6, v5
	v_cmp_gt_i32_e32 vcc, v20, v14
	v_cmp_gt_i32_e64 s[4:5], v21, v78
	s_and_b64 s[4:5], s[4:5], vcc
	v_sub_u32_e32 v4, v4, v5
	v_cndmask_b32_e64 v5, v38, 0, s[4:5]
	v_lshl_add_u32 v5, v4, 2, v5
.LBB15_65:                              ; =>This Inner Loop Header: Depth=1
	v_readfirstlane_b32 s8, v6
	v_readfirstlane_b32 s9, v7
	;; [unrolled: 1-line block ×4, first 2 shown]
	v_cmp_eq_u64_e32 vcc, s[8:9], v[6:7]
	v_cmp_eq_u64_e64 s[4:5], s[10:11], v[8:9]
	s_and_b64 s[4:5], vcc, s[4:5]
	s_and_saveexec_b64 s[4:5], s[4:5]
	s_nop 0
	buffer_store_dwordx4 v[22:25], v5, s[8:11], 0 offen
                                        ; implicit-def: $vgpr22_vgpr23_vgpr24_vgpr25
                                        ; implicit-def: $vgpr5
	s_xor_b64 exec, exec, s[4:5]
	s_cbranch_execnz .LBB15_65
; %bb.66:
	s_mov_b64 exec, s[6:7]
	flat_load_dword v5, v[48:49] offset:8
	flat_load_dword v20, v[48:49] offset:32
	;; [unrolled: 1-line block ×3, first 2 shown]
	v_bfrev_b32_e32 v22, 1
	s_mov_b64 s[6:7], exec
	s_waitcnt vmcnt(0) lgkmcnt(0)
	v_add_u32_e32 v4, v5, v4
	v_cmp_gt_i32_e32 vcc, v20, v14
	v_cmp_gt_i32_e64 s[4:5], v21, v74
	s_and_b64 s[4:5], s[4:5], vcc
	v_cndmask_b32_e64 v5, v22, 0, s[4:5]
	v_lshl_add_u32 v5, v4, 2, v5
.LBB15_67:                              ; =>This Inner Loop Header: Depth=1
	v_readfirstlane_b32 s8, v6
	v_readfirstlane_b32 s9, v7
	v_readfirstlane_b32 s10, v8
	v_readfirstlane_b32 s11, v9
	v_cmp_eq_u64_e32 vcc, s[8:9], v[6:7]
	v_cmp_eq_u64_e64 s[4:5], s[10:11], v[8:9]
	s_and_b64 s[4:5], vcc, s[4:5]
	s_and_saveexec_b64 s[4:5], s[4:5]
	s_nop 0
	buffer_store_dwordx4 v[64:67], v5, s[8:11], 0 offen
                                        ; implicit-def: $vgpr64_vgpr65_vgpr66_vgpr67
                                        ; implicit-def: $vgpr5
	s_xor_b64 exec, exec, s[4:5]
	s_cbranch_execnz .LBB15_67
; %bb.68:
	s_mov_b64 exec, s[6:7]
	flat_load_dword v5, v[48:49] offset:12
	flat_load_dword v20, v[48:49] offset:32
	;; [unrolled: 1-line block ×3, first 2 shown]
	v_bfrev_b32_e32 v22, 1
	s_mov_b64 s[6:7], exec
	s_waitcnt vmcnt(0) lgkmcnt(0)
	v_lshl_add_u32 v4, v5, 6, v4
	v_cmp_gt_i32_e32 vcc, v20, v15
	v_cmp_gt_i32_e64 s[4:5], v21, v74
	s_and_b64 s[4:5], s[4:5], vcc
	v_cndmask_b32_e64 v5, v22, 0, s[4:5]
	v_lshl_add_u32 v5, v4, 2, v5
.LBB15_69:                              ; =>This Inner Loop Header: Depth=1
	v_readfirstlane_b32 s8, v6
	v_readfirstlane_b32 s9, v7
	;; [unrolled: 1-line block ×4, first 2 shown]
	v_cmp_eq_u64_e32 vcc, s[8:9], v[6:7]
	v_cmp_eq_u64_e64 s[4:5], s[10:11], v[8:9]
	s_and_b64 s[4:5], vcc, s[4:5]
	s_and_saveexec_b64 s[4:5], s[4:5]
	s_nop 0
	buffer_store_dwordx4 v[68:71], v5, s[8:11], 0 offen
                                        ; implicit-def: $vgpr68_vgpr69_vgpr70_vgpr71
                                        ; implicit-def: $vgpr5
	s_xor_b64 exec, exec, s[4:5]
	s_cbranch_execnz .LBB15_69
; %bb.70:
	s_mov_b64 exec, s[6:7]
	flat_load_dword v5, v[48:49] offset:8
	flat_load_dword v20, v[48:49] offset:32
	;; [unrolled: 1-line block ×3, first 2 shown]
	v_bfrev_b32_e32 v22, 1
	s_mov_b64 s[6:7], exec
	s_waitcnt vmcnt(0) lgkmcnt(0)
	v_add_u32_e32 v4, v5, v4
	v_cmp_gt_i32_e32 vcc, v20, v15
	v_cmp_gt_i32_e64 s[4:5], v21, v75
	s_and_b64 s[4:5], s[4:5], vcc
	v_cndmask_b32_e64 v5, v22, 0, s[4:5]
	v_lshl_add_u32 v5, v4, 2, v5
.LBB15_71:                              ; =>This Inner Loop Header: Depth=1
	v_readfirstlane_b32 s8, v6
	v_readfirstlane_b32 s9, v7
	;; [unrolled: 1-line block ×4, first 2 shown]
	v_cmp_eq_u64_e32 vcc, s[8:9], v[6:7]
	v_cmp_eq_u64_e64 s[4:5], s[10:11], v[8:9]
	s_and_b64 s[4:5], vcc, s[4:5]
	s_and_saveexec_b64 s[4:5], s[4:5]
	s_nop 0
	buffer_store_dwordx4 v[84:87], v5, s[8:11], 0 offen
                                        ; implicit-def: $vgpr84_vgpr85_vgpr86_vgpr87
                                        ; implicit-def: $vgpr5
	s_xor_b64 exec, exec, s[4:5]
	s_cbranch_execnz .LBB15_71
; %bb.72:
	s_mov_b64 exec, s[6:7]
	flat_load_dword v5, v[48:49] offset:12
	flat_load_dword v20, v[48:49] offset:32
	;; [unrolled: 1-line block ×3, first 2 shown]
	v_bfrev_b32_e32 v22, 1
	s_mov_b64 s[6:7], exec
	s_waitcnt vmcnt(0) lgkmcnt(0)
	v_lshlrev_b32_e32 v5, 6, v5
	v_cmp_gt_i32_e32 vcc, v20, v14
	v_cmp_gt_i32_e64 s[4:5], v21, v75
	v_sub_u32_e32 v4, v4, v5
	s_and_b64 s[4:5], s[4:5], vcc
	v_cndmask_b32_e64 v5, v22, 0, s[4:5]
	v_lshlrev_b32_e32 v20, 2, v4
	v_add_u32_e32 v5, v5, v20
.LBB15_73:                              ; =>This Inner Loop Header: Depth=1
	v_readfirstlane_b32 s8, v6
	v_readfirstlane_b32 s9, v7
	;; [unrolled: 1-line block ×4, first 2 shown]
	v_cmp_eq_u64_e32 vcc, s[8:9], v[6:7]
	v_cmp_eq_u64_e64 s[4:5], s[10:11], v[8:9]
	s_and_b64 s[4:5], vcc, s[4:5]
	s_and_saveexec_b64 s[4:5], s[4:5]
	s_nop 0
	buffer_store_dwordx4 v[34:37], v5, s[8:11], 0 offen
                                        ; implicit-def: $vgpr34_vgpr35_vgpr36_vgpr37
                                        ; implicit-def: $vgpr5
	s_xor_b64 exec, exec, s[4:5]
	s_cbranch_execnz .LBB15_73
; %bb.74:
	s_mov_b64 exec, s[6:7]
	flat_load_dword v21, v[48:49] offset:32
	flat_load_dword v22, v[48:49] offset:20
	;; [unrolled: 1-line block ×3, first 2 shown]
	v_bfrev_b32_e32 v23, 1
	s_mov_b64 s[6:7], exec
	s_waitcnt vmcnt(0) lgkmcnt(0)
	v_cmp_gt_i32_e32 vcc, v21, v14
	v_cmp_gt_i32_e64 s[4:5], v22, v43
	s_and_b64 s[4:5], s[4:5], vcc
	v_lshlrev_b32_e32 v21, 8, v5
	v_cndmask_b32_e64 v22, v23, 0, s[4:5]
	v_add3_u32 v20, v21, v20, v22
.LBB15_75:                              ; =>This Inner Loop Header: Depth=1
	v_readfirstlane_b32 s8, v6
	v_readfirstlane_b32 s9, v7
	;; [unrolled: 1-line block ×4, first 2 shown]
	v_cmp_eq_u64_e32 vcc, s[8:9], v[6:7]
	v_cmp_eq_u64_e64 s[4:5], s[10:11], v[8:9]
	s_and_b64 s[4:5], vcc, s[4:5]
	s_and_saveexec_b64 s[4:5], s[4:5]
	s_nop 0
	buffer_store_dwordx4 v[112:115], v20, s[8:11], 0 offen
                                        ; implicit-def: $vgpr112_vgpr113_vgpr114_vgpr115
                                        ; implicit-def: $vgpr20
	s_xor_b64 exec, exec, s[4:5]
	s_cbranch_execnz .LBB15_75
; %bb.76:
	s_mov_b64 exec, s[6:7]
	flat_load_dword v20, v[48:49] offset:12
	flat_load_dword v21, v[48:49] offset:32
	;; [unrolled: 1-line block ×3, first 2 shown]
	v_bfrev_b32_e32 v23, 1
	s_mov_b64 s[6:7], exec
	s_waitcnt vmcnt(0) lgkmcnt(0)
	v_add_u32_e32 v5, v20, v5
	v_cmp_gt_i32_e32 vcc, v21, v15
	v_cmp_gt_i32_e64 s[4:5], v22, v43
	s_and_b64 s[4:5], s[4:5], vcc
	v_lshl_add_u32 v4, v5, 6, v4
	v_cndmask_b32_e64 v5, v23, 0, s[4:5]
	v_lshl_add_u32 v5, v4, 2, v5
.LBB15_77:                              ; =>This Inner Loop Header: Depth=1
	v_readfirstlane_b32 s8, v6
	v_readfirstlane_b32 s9, v7
	;; [unrolled: 1-line block ×4, first 2 shown]
	v_cmp_eq_u64_e32 vcc, s[8:9], v[6:7]
	v_cmp_eq_u64_e64 s[4:5], s[10:11], v[8:9]
	s_and_b64 s[4:5], vcc, s[4:5]
	s_and_saveexec_b64 s[4:5], s[4:5]
	s_nop 0
	buffer_store_dwordx4 v[16:19], v5, s[8:11], 0 offen
                                        ; implicit-def: $vgpr16_vgpr17_vgpr18_vgpr19
                                        ; implicit-def: $vgpr5
	s_xor_b64 exec, exec, s[4:5]
	s_cbranch_execnz .LBB15_77
; %bb.78:
	s_mov_b64 exec, s[6:7]
	flat_load_dword v5, v[48:49] offset:8
	flat_load_dword v16, v[48:49] offset:32
	;; [unrolled: 1-line block ×3, first 2 shown]
	v_bfrev_b32_e32 v18, 1
	s_mov_b64 s[6:7], exec
	s_waitcnt vmcnt(0) lgkmcnt(0)
	v_sub_u32_e32 v4, v4, v5
	v_cmp_gt_i32_e32 vcc, v16, v15
	v_cmp_ge_i32_e64 s[4:5], v17, v43
	s_and_b64 s[4:5], s[4:5], vcc
	v_cndmask_b32_e64 v5, v18, 0, s[4:5]
	v_lshl_add_u32 v5, v4, 2, v5
.LBB15_79:                              ; =>This Inner Loop Header: Depth=1
	v_readfirstlane_b32 s8, v6
	v_readfirstlane_b32 s9, v7
	;; [unrolled: 1-line block ×4, first 2 shown]
	v_cmp_eq_u64_e32 vcc, s[8:9], v[6:7]
	v_cmp_eq_u64_e64 s[4:5], s[10:11], v[8:9]
	s_and_b64 s[4:5], vcc, s[4:5]
	s_and_saveexec_b64 s[4:5], s[4:5]
	s_nop 0
	buffer_store_dwordx4 v[100:103], v5, s[8:11], 0 offen
                                        ; implicit-def: $vgpr100_vgpr101_vgpr102_vgpr103
                                        ; implicit-def: $vgpr5
	s_xor_b64 exec, exec, s[4:5]
	s_cbranch_execnz .LBB15_79
; %bb.80:
	s_mov_b64 exec, s[6:7]
	flat_load_dword v5, v[48:49] offset:12
	flat_load_dword v16, v[48:49] offset:32
	;; [unrolled: 1-line block ×3, first 2 shown]
	v_bfrev_b32_e32 v18, 1
	s_mov_b64 s[6:7], exec
	s_waitcnt vmcnt(0) lgkmcnt(0)
	v_lshlrev_b32_e32 v5, 6, v5
	v_cmp_gt_i32_e32 vcc, v16, v14
	v_cmp_gt_i32_e64 s[4:5], v17, v42
	s_and_b64 s[4:5], s[4:5], vcc
	v_sub_u32_e32 v4, v4, v5
	v_cndmask_b32_e64 v5, v18, 0, s[4:5]
	v_lshl_add_u32 v5, v4, 2, v5
.LBB15_81:                              ; =>This Inner Loop Header: Depth=1
	v_readfirstlane_b32 s8, v6
	v_readfirstlane_b32 s9, v7
	;; [unrolled: 1-line block ×4, first 2 shown]
	v_cmp_eq_u64_e32 vcc, s[8:9], v[6:7]
	v_cmp_eq_u64_e64 s[4:5], s[10:11], v[8:9]
	s_and_b64 s[4:5], vcc, s[4:5]
	s_and_saveexec_b64 s[4:5], s[4:5]
	s_nop 0
	buffer_store_dwordx4 v[96:99], v5, s[8:11], 0 offen
                                        ; implicit-def: $vgpr96_vgpr97_vgpr98_vgpr99
                                        ; implicit-def: $vgpr5
	s_xor_b64 exec, exec, s[4:5]
	s_cbranch_execnz .LBB15_81
; %bb.82:
	s_mov_b64 exec, s[6:7]
	flat_load_dword v5, v[48:49] offset:8
	flat_load_dword v16, v[48:49] offset:32
	;; [unrolled: 1-line block ×3, first 2 shown]
	v_bfrev_b32_e32 v18, 1
	s_mov_b64 s[6:7], exec
	s_waitcnt vmcnt(0) lgkmcnt(0)
	v_sub_u32_e32 v4, v4, v5
	v_cmp_gt_i32_e32 vcc, v16, v14
	v_cmp_ge_i32_e64 s[4:5], v17, v42
	s_and_b64 s[4:5], s[4:5], vcc
	v_cndmask_b32_e64 v5, v18, 0, s[4:5]
	v_lshl_add_u32 v5, v4, 2, v5
.LBB15_83:                              ; =>This Inner Loop Header: Depth=1
	v_readfirstlane_b32 s8, v6
	v_readfirstlane_b32 s9, v7
	;; [unrolled: 1-line block ×4, first 2 shown]
	v_cmp_eq_u64_e32 vcc, s[8:9], v[6:7]
	v_cmp_eq_u64_e64 s[4:5], s[10:11], v[8:9]
	s_and_b64 s[4:5], vcc, s[4:5]
	s_and_saveexec_b64 s[4:5], s[4:5]
	s_nop 0
	buffer_store_dwordx4 v[26:29], v5, s[8:11], 0 offen
                                        ; implicit-def: $vgpr26_vgpr27_vgpr28_vgpr29
                                        ; implicit-def: $vgpr5
	s_xor_b64 exec, exec, s[4:5]
	s_cbranch_execnz .LBB15_83
; %bb.84:
	s_mov_b64 exec, s[6:7]
	flat_load_dword v5, v[48:49] offset:12
	flat_load_dword v16, v[48:49] offset:32
	;; [unrolled: 1-line block ×3, first 2 shown]
	v_bfrev_b32_e32 v18, 1
	s_mov_b64 s[6:7], exec
	s_waitcnt vmcnt(0) lgkmcnt(0)
	v_lshl_add_u32 v4, v5, 6, v4
	v_cmp_gt_i32_e32 vcc, v16, v15
	v_cmp_gt_i32_e64 s[4:5], v17, v46
	s_and_b64 s[4:5], s[4:5], vcc
	v_cndmask_b32_e64 v5, v18, 0, s[4:5]
	v_lshl_add_u32 v5, v4, 2, v5
.LBB15_85:                              ; =>This Inner Loop Header: Depth=1
	v_readfirstlane_b32 s8, v6
	v_readfirstlane_b32 s9, v7
	;; [unrolled: 1-line block ×4, first 2 shown]
	v_cmp_eq_u64_e32 vcc, s[8:9], v[6:7]
	v_cmp_eq_u64_e64 s[4:5], s[10:11], v[8:9]
	s_and_b64 s[4:5], vcc, s[4:5]
	s_and_saveexec_b64 s[4:5], s[4:5]
	s_nop 0
	buffer_store_dwordx4 v[30:33], v5, s[8:11], 0 offen
                                        ; implicit-def: $vgpr30_vgpr31_vgpr32_vgpr33
                                        ; implicit-def: $vgpr5
	s_xor_b64 exec, exec, s[4:5]
	s_cbranch_execnz .LBB15_85
; %bb.86:
	s_mov_b64 exec, s[6:7]
	flat_load_dword v5, v[48:49] offset:8
	flat_load_dword v16, v[48:49] offset:32
	;; [unrolled: 1-line block ×3, first 2 shown]
	v_bfrev_b32_e32 v18, 1
	s_mov_b64 s[6:7], exec
	s_waitcnt vmcnt(0) lgkmcnt(0)
	v_sub_u32_e32 v4, v4, v5
	v_cmp_gt_i32_e32 vcc, v16, v15
	v_cmp_ge_i32_e64 s[4:5], v17, v46
	s_and_b64 s[4:5], s[4:5], vcc
	v_lshlrev_b32_e32 v4, 2, v4
	v_cndmask_b32_e64 v5, v18, 0, s[4:5]
	v_add_u32_e32 v5, v5, v4
.LBB15_87:                              ; =>This Inner Loop Header: Depth=1
	v_readfirstlane_b32 s8, v6
	v_readfirstlane_b32 s9, v7
	;; [unrolled: 1-line block ×4, first 2 shown]
	v_cmp_eq_u64_e32 vcc, s[8:9], v[6:7]
	v_cmp_eq_u64_e64 s[4:5], s[10:11], v[8:9]
	s_and_b64 s[4:5], vcc, s[4:5]
	s_and_saveexec_b64 s[4:5], s[4:5]
	s_nop 0
	buffer_store_dwordx4 v[10:13], v5, s[8:11], 0 offen
                                        ; implicit-def: $vgpr10_vgpr11_vgpr12_vgpr13
                                        ; implicit-def: $vgpr5
	s_xor_b64 exec, exec, s[4:5]
	s_cbranch_execnz .LBB15_87
; %bb.88:
	s_mov_b64 exec, s[6:7]
	flat_load_dword v5, v[48:49] offset:32
	flat_load_dword v10, v[48:49] offset:20
	;; [unrolled: 1-line block ×3, first 2 shown]
	v_bfrev_b32_e32 v12, 1
	s_mov_b64 s[6:7], exec
	s_waitcnt vmcnt(0) lgkmcnt(0)
	v_cmp_gt_i32_e32 vcc, v5, v14
	v_cmp_gt_i32_e64 s[4:5], v10, v39
	v_lshlrev_b32_e32 v5, 8, v11
	s_and_b64 s[4:5], s[4:5], vcc
	v_sub_u32_e32 v4, v4, v5
	v_cndmask_b32_e64 v5, v12, 0, s[4:5]
	v_add_u32_e32 v4, v4, v5
.LBB15_89:                              ; =>This Inner Loop Header: Depth=1
	v_readfirstlane_b32 s8, v6
	v_readfirstlane_b32 s9, v7
	;; [unrolled: 1-line block ×4, first 2 shown]
	v_cmp_eq_u64_e32 vcc, s[8:9], v[6:7]
	v_cmp_eq_u64_e64 s[4:5], s[10:11], v[8:9]
	s_and_b64 s[4:5], vcc, s[4:5]
	s_and_saveexec_b64 s[4:5], s[4:5]
	s_nop 0
	buffer_store_dwordx4 v[0:3], v4, s[8:11], 0 offen
                                        ; implicit-def: $vgpr6_vgpr7_vgpr8_vgpr9
                                        ; implicit-def: $vgpr0_vgpr1_vgpr2_vgpr3
                                        ; implicit-def: $vgpr4
	s_xor_b64 exec, exec, s[4:5]
	s_cbranch_execnz .LBB15_89
; %bb.90:
	s_mov_b64 exec, s[6:7]
	s_waitcnt vmcnt(0)
	s_setpc_b64 s[30:31]
.Lfunc_end15:
	.size	_ZN2ck32GridwiseGemmDlMultipleD_km_kn_mnILi256EffNS_5TupleIJfEEEfNS_16tensor_operation12element_wise11PassThroughES5_NS4_7AddReluELNS_25InMemoryDataOperationEnumE0ENS_16TensorDescriptorINS1_IJNS_5EmbedINS1_IJiiiiiEEESA_Lb0EEENS_11PassThroughIiEENS_3PadIiiiLb0EEESF_SF_SD_SD_NS9_INS1_IJiiEEESG_Lb0EEESH_SH_SD_NS_23Merge_v2_magic_divisionINS1_IJiiiiEEEEESK_NS_8RightPadIiiLb0EEESM_NS_7UnMergeISG_Lb0EEESD_EEENS1_IJNS_8SequenceIJLi0EEEENSQ_IJLi1EEEENSQ_IJLi2EEEENSQ_IJLi3EEEENSQ_IJLi4EEEENSQ_IJLi5EEEENSQ_IJLi6EEEENSQ_IJLi7EEEENSQ_IJLi8EEEENSQ_IJLi9EEEENSQ_IJLi10EEEENSQ_IJLi11ELi13ELi15ELi17EEEENSQ_IJLi12ELi14ELi16ELi18EEEENSQ_IJLi19EEEENSQ_IJLi20EEEENSQ_IJLi22EEEENSQ_IJLi21EEEEEEENS1_IJNSQ_IJLi1ELi2ELi3ELi4ELi5EEEESX_SY_SZ_S10_S11_NSQ_IJLi11EEEENSQ_IJLi12ELi13EEEENSQ_IJLi14ELi15EEEENSQ_IJLi16ELi17EEEENSQ_IJLi18EEEES14_S15_S17_S16_NSQ_IJLi23ELi24EEEENSQ_IJLi25EEEEEEENSQ_IJLi23ELi25ELi24EEEElEENS8_INS1_IJSO_SM_SM_SO_SD_EEENS1_IJSR_SS_ST_SV_SU_EEENS1_IJNSQ_IJLi1ELi2EEEESU_SV_NSQ_IJLi5ELi6EEEESY_EEENSQ_IJLi5ELi7ELi6EEEElEENS8_INS1_IJSH_SM_SM_EEENS1_IJSR_SS_ST_EEENS1_IJS1M_SU_SV_EEENSQ_IJLi3ELi4EEEElEELi128ELi128ELi16ELi1ELi4ELi4ELi1ENSQ_IJLi8ELi2EEEES1W_NSQ_IJLi8ELi1ELi1ELi1EEEENSQ_IJLi2ELi1ELi128ELi1EEEENSQ_IJLi1ELi2ELi0ELi3EEEES1Z_NSQ_IJLi4ELi1ELi1ELi1EEEES1Z_NSQ_IJLi1ELi1ELi1ELi1EEEES1X_S1Y_S1Z_S1Z_S20_S1Z_S21_NSQ_IJLi0ELi1ELi2ELi3ELi4ELi5EEEELi5ELi4EE3RunINS1_IJNS8_INS1_IJSH_SM_SM_NSN_INS1_IJiNS_17integral_constantIiLi2EEENS25_IiLi64EEEEEELb0EEES29_EEENS1_IJSR_SS_ST_SU_SV_EEENS1_IJS1M_SU_SV_NSQ_IJLi5ELi6ELi7EEEENSQ_IJLi8ELi9ELi10EEEEEEENSQ_IJLi5ELi6ELi7ELi8ELi9ELi10EEEElEEEEELb1ELb0ENS_31BlockToCTileMap_M00_N00_M01_N01ILi128ELi128ES1V_Lb0EEEEEvPKfS2L_NS1_IJS2L_EEEPfPvRKS5_S2Q_RKS6_RKNS8_INS1_IJSB_SD_SF_SF_SF_SD_SD_SH_SH_SH_SD_SK_SK_SM_SM_SO_SD_SD_NSN_INS1_IJiNS25_IiLi128EEEEEELb0EEENSC_INS25_IiLi1EEEEEEEENS1_IJSR_SS_ST_SU_SV_SW_SX_SY_SZ_S10_S11_S12_S13_S14_S15_S16_S17_NSQ_IJLi23EEEES1G_NSQ_IJLi24EEEEEEENS1_IJS19_SX_SY_SZ_S10_S11_S1A_S1B_S1C_S1D_S1E_S14_S15_S17_S16_S1F_S1G_NSQ_IJLi26EEEENSQ_IJLi27ELi28EEEENSQ_IJLi29EEEEEEENSQ_IJLi26ELi27ELi28ELi29EEEElEERKNS8_INS1_IJSO_SM_SM_SO_SD_SD_S2V_S2X_EEENS1_IJSR_SS_ST_SV_SU_SW_SY_SX_EEENS1_IJS1M_SU_SV_S1N_SY_SZ_NSQ_IJLi9ELi10EEEES1A_EEENSQ_IJLi8ELi9ELi10ELi11EEEElEERKT_RKS2G_RKT2_NS25_IbXT0_EEENS25_IbXT1_EEE, .Lfunc_end15-_ZN2ck32GridwiseGemmDlMultipleD_km_kn_mnILi256EffNS_5TupleIJfEEEfNS_16tensor_operation12element_wise11PassThroughES5_NS4_7AddReluELNS_25InMemoryDataOperationEnumE0ENS_16TensorDescriptorINS1_IJNS_5EmbedINS1_IJiiiiiEEESA_Lb0EEENS_11PassThroughIiEENS_3PadIiiiLb0EEESF_SF_SD_SD_NS9_INS1_IJiiEEESG_Lb0EEESH_SH_SD_NS_23Merge_v2_magic_divisionINS1_IJiiiiEEEEESK_NS_8RightPadIiiLb0EEESM_NS_7UnMergeISG_Lb0EEESD_EEENS1_IJNS_8SequenceIJLi0EEEENSQ_IJLi1EEEENSQ_IJLi2EEEENSQ_IJLi3EEEENSQ_IJLi4EEEENSQ_IJLi5EEEENSQ_IJLi6EEEENSQ_IJLi7EEEENSQ_IJLi8EEEENSQ_IJLi9EEEENSQ_IJLi10EEEENSQ_IJLi11ELi13ELi15ELi17EEEENSQ_IJLi12ELi14ELi16ELi18EEEENSQ_IJLi19EEEENSQ_IJLi20EEEENSQ_IJLi22EEEENSQ_IJLi21EEEEEEENS1_IJNSQ_IJLi1ELi2ELi3ELi4ELi5EEEESX_SY_SZ_S10_S11_NSQ_IJLi11EEEENSQ_IJLi12ELi13EEEENSQ_IJLi14ELi15EEEENSQ_IJLi16ELi17EEEENSQ_IJLi18EEEES14_S15_S17_S16_NSQ_IJLi23ELi24EEEENSQ_IJLi25EEEEEEENSQ_IJLi23ELi25ELi24EEEElEENS8_INS1_IJSO_SM_SM_SO_SD_EEENS1_IJSR_SS_ST_SV_SU_EEENS1_IJNSQ_IJLi1ELi2EEEESU_SV_NSQ_IJLi5ELi6EEEESY_EEENSQ_IJLi5ELi7ELi6EEEElEENS8_INS1_IJSH_SM_SM_EEENS1_IJSR_SS_ST_EEENS1_IJS1M_SU_SV_EEENSQ_IJLi3ELi4EEEElEELi128ELi128ELi16ELi1ELi4ELi4ELi1ENSQ_IJLi8ELi2EEEES1W_NSQ_IJLi8ELi1ELi1ELi1EEEENSQ_IJLi2ELi1ELi128ELi1EEEENSQ_IJLi1ELi2ELi0ELi3EEEES1Z_NSQ_IJLi4ELi1ELi1ELi1EEEES1Z_NSQ_IJLi1ELi1ELi1ELi1EEEES1X_S1Y_S1Z_S1Z_S20_S1Z_S21_NSQ_IJLi0ELi1ELi2ELi3ELi4ELi5EEEELi5ELi4EE3RunINS1_IJNS8_INS1_IJSH_SM_SM_NSN_INS1_IJiNS_17integral_constantIiLi2EEENS25_IiLi64EEEEEELb0EEES29_EEENS1_IJSR_SS_ST_SU_SV_EEENS1_IJS1M_SU_SV_NSQ_IJLi5ELi6ELi7EEEENSQ_IJLi8ELi9ELi10EEEEEEENSQ_IJLi5ELi6ELi7ELi8ELi9ELi10EEEElEEEEELb1ELb0ENS_31BlockToCTileMap_M00_N00_M01_N01ILi128ELi128ES1V_Lb0EEEEEvPKfS2L_NS1_IJS2L_EEEPfPvRKS5_S2Q_RKS6_RKNS8_INS1_IJSB_SD_SF_SF_SF_SD_SD_SH_SH_SH_SD_SK_SK_SM_SM_SO_SD_SD_NSN_INS1_IJiNS25_IiLi128EEEEEELb0EEENSC_INS25_IiLi1EEEEEEEENS1_IJSR_SS_ST_SU_SV_SW_SX_SY_SZ_S10_S11_S12_S13_S14_S15_S16_S17_NSQ_IJLi23EEEES1G_NSQ_IJLi24EEEEEEENS1_IJS19_SX_SY_SZ_S10_S11_S1A_S1B_S1C_S1D_S1E_S14_S15_S17_S16_S1F_S1G_NSQ_IJLi26EEEENSQ_IJLi27ELi28EEEENSQ_IJLi29EEEEEEENSQ_IJLi26ELi27ELi28ELi29EEEElEERKNS8_INS1_IJSO_SM_SM_SO_SD_SD_S2V_S2X_EEENS1_IJSR_SS_ST_SV_SU_SW_SY_SX_EEENS1_IJS1M_SU_SV_S1N_SY_SZ_NSQ_IJLi9ELi10EEEES1A_EEENSQ_IJLi8ELi9ELi10ELi11EEEElEERKT_RKS2G_RKT2_NS25_IbXT0_EEENS25_IbXT1_EEE
                                        ; -- End function
	.section	.AMDGPU.csdata,"",@progbits
; Function info:
; codeLenInByte = 36348
; NumSgprs: 36
; NumVgprs: 128
; NumAgprs: 18
; TotalNumVgprs: 146
; ScratchSize: 0
; MemoryBound: 0
	.section	.text._ZN2ck16tensor_operation6device12_GLOBAL__N_137kernel_grouped_conv_fwd_dl_multiple_dINS_32GridwiseGemmDlMultipleD_km_kn_mnILi256EffNS_5TupleIJfEEEfNS0_12element_wise11PassThroughES8_NS7_7AddReluELNS_25InMemoryDataOperationEnumE0ENS_16TensorDescriptorINS5_IJNS_5EmbedINS5_IJiiiiiEEESD_Lb0EEENS_11PassThroughIiEENS_3PadIiiiLb0EEESI_SI_SG_SG_NSC_INS5_IJiiEEESJ_Lb0EEESK_SK_SG_NS_23Merge_v2_magic_divisionINS5_IJiiiiEEEEESN_NS_8RightPadIiiLb0EEESP_NS_7UnMergeISJ_Lb0EEESG_EEENS5_IJNS_8SequenceIJLi0EEEENST_IJLi1EEEENST_IJLi2EEEENST_IJLi3EEEENST_IJLi4EEEENST_IJLi5EEEENST_IJLi6EEEENST_IJLi7EEEENST_IJLi8EEEENST_IJLi9EEEENST_IJLi10EEEENST_IJLi11ELi13ELi15ELi17EEEENST_IJLi12ELi14ELi16ELi18EEEENST_IJLi19EEEENST_IJLi20EEEENST_IJLi22EEEENST_IJLi21EEEEEEENS5_IJNST_IJLi1ELi2ELi3ELi4ELi5EEEES10_S11_S12_S13_S14_NST_IJLi11EEEENST_IJLi12ELi13EEEENST_IJLi14ELi15EEEENST_IJLi16ELi17EEEENST_IJLi18EEEES17_S18_S1A_S19_NST_IJLi23ELi24EEEENST_IJLi25EEEEEEENST_IJLi23ELi25ELi24EEEElEENSB_INS5_IJSR_SP_SP_SR_SG_EEENS5_IJSU_SV_SW_SY_SX_EEENS5_IJNST_IJLi1ELi2EEEESX_SY_NST_IJLi5ELi6EEEES11_EEENST_IJLi5ELi7ELi6EEEElEENSB_INS5_IJSK_SP_SP_EEENS5_IJSU_SV_SW_EEENS5_IJS1P_SX_SY_EEENST_IJLi3ELi4EEEElEELi128ELi128ELi16ELi1ELi4ELi4ELi1ENST_IJLi8ELi2EEEES1Z_NST_IJLi8ELi1ELi1ELi1EEEENST_IJLi2ELi1ELi128ELi1EEEENST_IJLi1ELi2ELi0ELi3EEEES22_NST_IJLi4ELi1ELi1ELi1EEEES22_NST_IJLi1ELi1ELi1ELi1EEEES20_S21_S22_S22_S23_S22_S24_NST_IJLi0ELi1ELi2ELi3ELi4ELi5EEEELi5ELi4EEEfNS5_IJPKfEEEfS8_S8_S9_NSB_INS5_IJSE_SG_SI_SI_SI_SG_SG_SK_SK_SK_SG_SN_SN_SP_SP_SR_SG_SG_NSQ_INS5_IJiNS_17integral_constantIiLi128EEEEEELb0EEENSF_INS2A_IiLi1EEEEEEEENS5_IJSU_SV_SW_SX_SY_SZ_S10_S11_S12_S13_S14_S15_S16_S17_S18_S19_S1A_NST_IJLi23EEEES1J_NST_IJLi24EEEEEEENS5_IJS1C_S10_S11_S12_S13_S14_S1D_S1E_S1F_S1G_S1H_S17_S18_S1A_S19_S1I_S1J_NST_IJLi26EEEENST_IJLi27ELi28EEEENST_IJLi29EEEEEEENST_IJLi26ELi27ELi28ELi29EEEElEENSB_INS5_IJSR_SP_SP_SR_SG_SG_S2D_S2F_EEENS5_IJSU_SV_SW_SY_SX_SZ_S11_S10_EEENS5_IJS1P_SX_SY_S1Q_S11_S12_NST_IJLi9ELi10EEEES1D_EEENST_IJLi8ELi9ELi10ELi11EEEElEENS5_IJNSB_INS5_IJSK_SP_SP_NSQ_INS5_IJiNS2A_IiLi2EEENS2A_IiLi64EEEEEELb0EEES2Z_EEENS5_IJSU_SV_SW_SX_SY_EEENS5_IJS1P_SX_SY_NST_IJLi5ELi6ELi7EEEENST_IJLi8ELi9ELi10EEEEEEENST_IJLi5ELi6ELi7ELi8ELi9ELi10EEEElEEEEES36_NS_31BlockToCTileMap_M00_N00_M01_N01ILi128ELi128ES1Y_Lb0EEENS1_30ComputePtrOffsetOfStridedBatchILi1ELi1ELi1EvEELb1ELb0EEEvPKT0_S3E_T1_PT2_T3_T4_T5_iT6_T7_T8_T9_T10_T11_,"axG",@progbits,_ZN2ck16tensor_operation6device12_GLOBAL__N_137kernel_grouped_conv_fwd_dl_multiple_dINS_32GridwiseGemmDlMultipleD_km_kn_mnILi256EffNS_5TupleIJfEEEfNS0_12element_wise11PassThroughES8_NS7_7AddReluELNS_25InMemoryDataOperationEnumE0ENS_16TensorDescriptorINS5_IJNS_5EmbedINS5_IJiiiiiEEESD_Lb0EEENS_11PassThroughIiEENS_3PadIiiiLb0EEESI_SI_SG_SG_NSC_INS5_IJiiEEESJ_Lb0EEESK_SK_SG_NS_23Merge_v2_magic_divisionINS5_IJiiiiEEEEESN_NS_8RightPadIiiLb0EEESP_NS_7UnMergeISJ_Lb0EEESG_EEENS5_IJNS_8SequenceIJLi0EEEENST_IJLi1EEEENST_IJLi2EEEENST_IJLi3EEEENST_IJLi4EEEENST_IJLi5EEEENST_IJLi6EEEENST_IJLi7EEEENST_IJLi8EEEENST_IJLi9EEEENST_IJLi10EEEENST_IJLi11ELi13ELi15ELi17EEEENST_IJLi12ELi14ELi16ELi18EEEENST_IJLi19EEEENST_IJLi20EEEENST_IJLi22EEEENST_IJLi21EEEEEEENS5_IJNST_IJLi1ELi2ELi3ELi4ELi5EEEES10_S11_S12_S13_S14_NST_IJLi11EEEENST_IJLi12ELi13EEEENST_IJLi14ELi15EEEENST_IJLi16ELi17EEEENST_IJLi18EEEES17_S18_S1A_S19_NST_IJLi23ELi24EEEENST_IJLi25EEEEEEENST_IJLi23ELi25ELi24EEEElEENSB_INS5_IJSR_SP_SP_SR_SG_EEENS5_IJSU_SV_SW_SY_SX_EEENS5_IJNST_IJLi1ELi2EEEESX_SY_NST_IJLi5ELi6EEEES11_EEENST_IJLi5ELi7ELi6EEEElEENSB_INS5_IJSK_SP_SP_EEENS5_IJSU_SV_SW_EEENS5_IJS1P_SX_SY_EEENST_IJLi3ELi4EEEElEELi128ELi128ELi16ELi1ELi4ELi4ELi1ENST_IJLi8ELi2EEEES1Z_NST_IJLi8ELi1ELi1ELi1EEEENST_IJLi2ELi1ELi128ELi1EEEENST_IJLi1ELi2ELi0ELi3EEEES22_NST_IJLi4ELi1ELi1ELi1EEEES22_NST_IJLi1ELi1ELi1ELi1EEEES20_S21_S22_S22_S23_S22_S24_NST_IJLi0ELi1ELi2ELi3ELi4ELi5EEEELi5ELi4EEEfNS5_IJPKfEEEfS8_S8_S9_NSB_INS5_IJSE_SG_SI_SI_SI_SG_SG_SK_SK_SK_SG_SN_SN_SP_SP_SR_SG_SG_NSQ_INS5_IJiNS_17integral_constantIiLi128EEEEEELb0EEENSF_INS2A_IiLi1EEEEEEEENS5_IJSU_SV_SW_SX_SY_SZ_S10_S11_S12_S13_S14_S15_S16_S17_S18_S19_S1A_NST_IJLi23EEEES1J_NST_IJLi24EEEEEEENS5_IJS1C_S10_S11_S12_S13_S14_S1D_S1E_S1F_S1G_S1H_S17_S18_S1A_S19_S1I_S1J_NST_IJLi26EEEENST_IJLi27ELi28EEEENST_IJLi29EEEEEEENST_IJLi26ELi27ELi28ELi29EEEElEENSB_INS5_IJSR_SP_SP_SR_SG_SG_S2D_S2F_EEENS5_IJSU_SV_SW_SY_SX_SZ_S11_S10_EEENS5_IJS1P_SX_SY_S1Q_S11_S12_NST_IJLi9ELi10EEEES1D_EEENST_IJLi8ELi9ELi10ELi11EEEElEENS5_IJNSB_INS5_IJSK_SP_SP_NSQ_INS5_IJiNS2A_IiLi2EEENS2A_IiLi64EEEEEELb0EEES2Z_EEENS5_IJSU_SV_SW_SX_SY_EEENS5_IJS1P_SX_SY_NST_IJLi5ELi6ELi7EEEENST_IJLi8ELi9ELi10EEEEEEENST_IJLi5ELi6ELi7ELi8ELi9ELi10EEEElEEEEES36_NS_31BlockToCTileMap_M00_N00_M01_N01ILi128ELi128ES1Y_Lb0EEENS1_30ComputePtrOffsetOfStridedBatchILi1ELi1ELi1EvEELb1ELb0EEEvPKT0_S3E_T1_PT2_T3_T4_T5_iT6_T7_T8_T9_T10_T11_,comdat
	.globl	_ZN2ck16tensor_operation6device12_GLOBAL__N_137kernel_grouped_conv_fwd_dl_multiple_dINS_32GridwiseGemmDlMultipleD_km_kn_mnILi256EffNS_5TupleIJfEEEfNS0_12element_wise11PassThroughES8_NS7_7AddReluELNS_25InMemoryDataOperationEnumE0ENS_16TensorDescriptorINS5_IJNS_5EmbedINS5_IJiiiiiEEESD_Lb0EEENS_11PassThroughIiEENS_3PadIiiiLb0EEESI_SI_SG_SG_NSC_INS5_IJiiEEESJ_Lb0EEESK_SK_SG_NS_23Merge_v2_magic_divisionINS5_IJiiiiEEEEESN_NS_8RightPadIiiLb0EEESP_NS_7UnMergeISJ_Lb0EEESG_EEENS5_IJNS_8SequenceIJLi0EEEENST_IJLi1EEEENST_IJLi2EEEENST_IJLi3EEEENST_IJLi4EEEENST_IJLi5EEEENST_IJLi6EEEENST_IJLi7EEEENST_IJLi8EEEENST_IJLi9EEEENST_IJLi10EEEENST_IJLi11ELi13ELi15ELi17EEEENST_IJLi12ELi14ELi16ELi18EEEENST_IJLi19EEEENST_IJLi20EEEENST_IJLi22EEEENST_IJLi21EEEEEEENS5_IJNST_IJLi1ELi2ELi3ELi4ELi5EEEES10_S11_S12_S13_S14_NST_IJLi11EEEENST_IJLi12ELi13EEEENST_IJLi14ELi15EEEENST_IJLi16ELi17EEEENST_IJLi18EEEES17_S18_S1A_S19_NST_IJLi23ELi24EEEENST_IJLi25EEEEEEENST_IJLi23ELi25ELi24EEEElEENSB_INS5_IJSR_SP_SP_SR_SG_EEENS5_IJSU_SV_SW_SY_SX_EEENS5_IJNST_IJLi1ELi2EEEESX_SY_NST_IJLi5ELi6EEEES11_EEENST_IJLi5ELi7ELi6EEEElEENSB_INS5_IJSK_SP_SP_EEENS5_IJSU_SV_SW_EEENS5_IJS1P_SX_SY_EEENST_IJLi3ELi4EEEElEELi128ELi128ELi16ELi1ELi4ELi4ELi1ENST_IJLi8ELi2EEEES1Z_NST_IJLi8ELi1ELi1ELi1EEEENST_IJLi2ELi1ELi128ELi1EEEENST_IJLi1ELi2ELi0ELi3EEEES22_NST_IJLi4ELi1ELi1ELi1EEEES22_NST_IJLi1ELi1ELi1ELi1EEEES20_S21_S22_S22_S23_S22_S24_NST_IJLi0ELi1ELi2ELi3ELi4ELi5EEEELi5ELi4EEEfNS5_IJPKfEEEfS8_S8_S9_NSB_INS5_IJSE_SG_SI_SI_SI_SG_SG_SK_SK_SK_SG_SN_SN_SP_SP_SR_SG_SG_NSQ_INS5_IJiNS_17integral_constantIiLi128EEEEEELb0EEENSF_INS2A_IiLi1EEEEEEEENS5_IJSU_SV_SW_SX_SY_SZ_S10_S11_S12_S13_S14_S15_S16_S17_S18_S19_S1A_NST_IJLi23EEEES1J_NST_IJLi24EEEEEEENS5_IJS1C_S10_S11_S12_S13_S14_S1D_S1E_S1F_S1G_S1H_S17_S18_S1A_S19_S1I_S1J_NST_IJLi26EEEENST_IJLi27ELi28EEEENST_IJLi29EEEEEEENST_IJLi26ELi27ELi28ELi29EEEElEENSB_INS5_IJSR_SP_SP_SR_SG_SG_S2D_S2F_EEENS5_IJSU_SV_SW_SY_SX_SZ_S11_S10_EEENS5_IJS1P_SX_SY_S1Q_S11_S12_NST_IJLi9ELi10EEEES1D_EEENST_IJLi8ELi9ELi10ELi11EEEElEENS5_IJNSB_INS5_IJSK_SP_SP_NSQ_INS5_IJiNS2A_IiLi2EEENS2A_IiLi64EEEEEELb0EEES2Z_EEENS5_IJSU_SV_SW_SX_SY_EEENS5_IJS1P_SX_SY_NST_IJLi5ELi6ELi7EEEENST_IJLi8ELi9ELi10EEEEEEENST_IJLi5ELi6ELi7ELi8ELi9ELi10EEEElEEEEES36_NS_31BlockToCTileMap_M00_N00_M01_N01ILi128ELi128ES1Y_Lb0EEENS1_30ComputePtrOffsetOfStridedBatchILi1ELi1ELi1EvEELb1ELb0EEEvPKT0_S3E_T1_PT2_T3_T4_T5_iT6_T7_T8_T9_T10_T11_ ; -- Begin function _ZN2ck16tensor_operation6device12_GLOBAL__N_137kernel_grouped_conv_fwd_dl_multiple_dINS_32GridwiseGemmDlMultipleD_km_kn_mnILi256EffNS_5TupleIJfEEEfNS0_12element_wise11PassThroughES8_NS7_7AddReluELNS_25InMemoryDataOperationEnumE0ENS_16TensorDescriptorINS5_IJNS_5EmbedINS5_IJiiiiiEEESD_Lb0EEENS_11PassThroughIiEENS_3PadIiiiLb0EEESI_SI_SG_SG_NSC_INS5_IJiiEEESJ_Lb0EEESK_SK_SG_NS_23Merge_v2_magic_divisionINS5_IJiiiiEEEEESN_NS_8RightPadIiiLb0EEESP_NS_7UnMergeISJ_Lb0EEESG_EEENS5_IJNS_8SequenceIJLi0EEEENST_IJLi1EEEENST_IJLi2EEEENST_IJLi3EEEENST_IJLi4EEEENST_IJLi5EEEENST_IJLi6EEEENST_IJLi7EEEENST_IJLi8EEEENST_IJLi9EEEENST_IJLi10EEEENST_IJLi11ELi13ELi15ELi17EEEENST_IJLi12ELi14ELi16ELi18EEEENST_IJLi19EEEENST_IJLi20EEEENST_IJLi22EEEENST_IJLi21EEEEEEENS5_IJNST_IJLi1ELi2ELi3ELi4ELi5EEEES10_S11_S12_S13_S14_NST_IJLi11EEEENST_IJLi12ELi13EEEENST_IJLi14ELi15EEEENST_IJLi16ELi17EEEENST_IJLi18EEEES17_S18_S1A_S19_NST_IJLi23ELi24EEEENST_IJLi25EEEEEEENST_IJLi23ELi25ELi24EEEElEENSB_INS5_IJSR_SP_SP_SR_SG_EEENS5_IJSU_SV_SW_SY_SX_EEENS5_IJNST_IJLi1ELi2EEEESX_SY_NST_IJLi5ELi6EEEES11_EEENST_IJLi5ELi7ELi6EEEElEENSB_INS5_IJSK_SP_SP_EEENS5_IJSU_SV_SW_EEENS5_IJS1P_SX_SY_EEENST_IJLi3ELi4EEEElEELi128ELi128ELi16ELi1ELi4ELi4ELi1ENST_IJLi8ELi2EEEES1Z_NST_IJLi8ELi1ELi1ELi1EEEENST_IJLi2ELi1ELi128ELi1EEEENST_IJLi1ELi2ELi0ELi3EEEES22_NST_IJLi4ELi1ELi1ELi1EEEES22_NST_IJLi1ELi1ELi1ELi1EEEES20_S21_S22_S22_S23_S22_S24_NST_IJLi0ELi1ELi2ELi3ELi4ELi5EEEELi5ELi4EEEfNS5_IJPKfEEEfS8_S8_S9_NSB_INS5_IJSE_SG_SI_SI_SI_SG_SG_SK_SK_SK_SG_SN_SN_SP_SP_SR_SG_SG_NSQ_INS5_IJiNS_17integral_constantIiLi128EEEEEELb0EEENSF_INS2A_IiLi1EEEEEEEENS5_IJSU_SV_SW_SX_SY_SZ_S10_S11_S12_S13_S14_S15_S16_S17_S18_S19_S1A_NST_IJLi23EEEES1J_NST_IJLi24EEEEEEENS5_IJS1C_S10_S11_S12_S13_S14_S1D_S1E_S1F_S1G_S1H_S17_S18_S1A_S19_S1I_S1J_NST_IJLi26EEEENST_IJLi27ELi28EEEENST_IJLi29EEEEEEENST_IJLi26ELi27ELi28ELi29EEEElEENSB_INS5_IJSR_SP_SP_SR_SG_SG_S2D_S2F_EEENS5_IJSU_SV_SW_SY_SX_SZ_S11_S10_EEENS5_IJS1P_SX_SY_S1Q_S11_S12_NST_IJLi9ELi10EEEES1D_EEENST_IJLi8ELi9ELi10ELi11EEEElEENS5_IJNSB_INS5_IJSK_SP_SP_NSQ_INS5_IJiNS2A_IiLi2EEENS2A_IiLi64EEEEEELb0EEES2Z_EEENS5_IJSU_SV_SW_SX_SY_EEENS5_IJS1P_SX_SY_NST_IJLi5ELi6ELi7EEEENST_IJLi8ELi9ELi10EEEEEEENST_IJLi5ELi6ELi7ELi8ELi9ELi10EEEElEEEEES36_NS_31BlockToCTileMap_M00_N00_M01_N01ILi128ELi128ES1Y_Lb0EEENS1_30ComputePtrOffsetOfStridedBatchILi1ELi1ELi1EvEELb1ELb0EEEvPKT0_S3E_T1_PT2_T3_T4_T5_iT6_T7_T8_T9_T10_T11_
	.p2align	8
	.type	_ZN2ck16tensor_operation6device12_GLOBAL__N_137kernel_grouped_conv_fwd_dl_multiple_dINS_32GridwiseGemmDlMultipleD_km_kn_mnILi256EffNS_5TupleIJfEEEfNS0_12element_wise11PassThroughES8_NS7_7AddReluELNS_25InMemoryDataOperationEnumE0ENS_16TensorDescriptorINS5_IJNS_5EmbedINS5_IJiiiiiEEESD_Lb0EEENS_11PassThroughIiEENS_3PadIiiiLb0EEESI_SI_SG_SG_NSC_INS5_IJiiEEESJ_Lb0EEESK_SK_SG_NS_23Merge_v2_magic_divisionINS5_IJiiiiEEEEESN_NS_8RightPadIiiLb0EEESP_NS_7UnMergeISJ_Lb0EEESG_EEENS5_IJNS_8SequenceIJLi0EEEENST_IJLi1EEEENST_IJLi2EEEENST_IJLi3EEEENST_IJLi4EEEENST_IJLi5EEEENST_IJLi6EEEENST_IJLi7EEEENST_IJLi8EEEENST_IJLi9EEEENST_IJLi10EEEENST_IJLi11ELi13ELi15ELi17EEEENST_IJLi12ELi14ELi16ELi18EEEENST_IJLi19EEEENST_IJLi20EEEENST_IJLi22EEEENST_IJLi21EEEEEEENS5_IJNST_IJLi1ELi2ELi3ELi4ELi5EEEES10_S11_S12_S13_S14_NST_IJLi11EEEENST_IJLi12ELi13EEEENST_IJLi14ELi15EEEENST_IJLi16ELi17EEEENST_IJLi18EEEES17_S18_S1A_S19_NST_IJLi23ELi24EEEENST_IJLi25EEEEEEENST_IJLi23ELi25ELi24EEEElEENSB_INS5_IJSR_SP_SP_SR_SG_EEENS5_IJSU_SV_SW_SY_SX_EEENS5_IJNST_IJLi1ELi2EEEESX_SY_NST_IJLi5ELi6EEEES11_EEENST_IJLi5ELi7ELi6EEEElEENSB_INS5_IJSK_SP_SP_EEENS5_IJSU_SV_SW_EEENS5_IJS1P_SX_SY_EEENST_IJLi3ELi4EEEElEELi128ELi128ELi16ELi1ELi4ELi4ELi1ENST_IJLi8ELi2EEEES1Z_NST_IJLi8ELi1ELi1ELi1EEEENST_IJLi2ELi1ELi128ELi1EEEENST_IJLi1ELi2ELi0ELi3EEEES22_NST_IJLi4ELi1ELi1ELi1EEEES22_NST_IJLi1ELi1ELi1ELi1EEEES20_S21_S22_S22_S23_S22_S24_NST_IJLi0ELi1ELi2ELi3ELi4ELi5EEEELi5ELi4EEEfNS5_IJPKfEEEfS8_S8_S9_NSB_INS5_IJSE_SG_SI_SI_SI_SG_SG_SK_SK_SK_SG_SN_SN_SP_SP_SR_SG_SG_NSQ_INS5_IJiNS_17integral_constantIiLi128EEEEEELb0EEENSF_INS2A_IiLi1EEEEEEEENS5_IJSU_SV_SW_SX_SY_SZ_S10_S11_S12_S13_S14_S15_S16_S17_S18_S19_S1A_NST_IJLi23EEEES1J_NST_IJLi24EEEEEEENS5_IJS1C_S10_S11_S12_S13_S14_S1D_S1E_S1F_S1G_S1H_S17_S18_S1A_S19_S1I_S1J_NST_IJLi26EEEENST_IJLi27ELi28EEEENST_IJLi29EEEEEEENST_IJLi26ELi27ELi28ELi29EEEElEENSB_INS5_IJSR_SP_SP_SR_SG_SG_S2D_S2F_EEENS5_IJSU_SV_SW_SY_SX_SZ_S11_S10_EEENS5_IJS1P_SX_SY_S1Q_S11_S12_NST_IJLi9ELi10EEEES1D_EEENST_IJLi8ELi9ELi10ELi11EEEElEENS5_IJNSB_INS5_IJSK_SP_SP_NSQ_INS5_IJiNS2A_IiLi2EEENS2A_IiLi64EEEEEELb0EEES2Z_EEENS5_IJSU_SV_SW_SX_SY_EEENS5_IJS1P_SX_SY_NST_IJLi5ELi6ELi7EEEENST_IJLi8ELi9ELi10EEEEEEENST_IJLi5ELi6ELi7ELi8ELi9ELi10EEEElEEEEES36_NS_31BlockToCTileMap_M00_N00_M01_N01ILi128ELi128ES1Y_Lb0EEENS1_30ComputePtrOffsetOfStridedBatchILi1ELi1ELi1EvEELb1ELb0EEEvPKT0_S3E_T1_PT2_T3_T4_T5_iT6_T7_T8_T9_T10_T11_,@function
_ZN2ck16tensor_operation6device12_GLOBAL__N_137kernel_grouped_conv_fwd_dl_multiple_dINS_32GridwiseGemmDlMultipleD_km_kn_mnILi256EffNS_5TupleIJfEEEfNS0_12element_wise11PassThroughES8_NS7_7AddReluELNS_25InMemoryDataOperationEnumE0ENS_16TensorDescriptorINS5_IJNS_5EmbedINS5_IJiiiiiEEESD_Lb0EEENS_11PassThroughIiEENS_3PadIiiiLb0EEESI_SI_SG_SG_NSC_INS5_IJiiEEESJ_Lb0EEESK_SK_SG_NS_23Merge_v2_magic_divisionINS5_IJiiiiEEEEESN_NS_8RightPadIiiLb0EEESP_NS_7UnMergeISJ_Lb0EEESG_EEENS5_IJNS_8SequenceIJLi0EEEENST_IJLi1EEEENST_IJLi2EEEENST_IJLi3EEEENST_IJLi4EEEENST_IJLi5EEEENST_IJLi6EEEENST_IJLi7EEEENST_IJLi8EEEENST_IJLi9EEEENST_IJLi10EEEENST_IJLi11ELi13ELi15ELi17EEEENST_IJLi12ELi14ELi16ELi18EEEENST_IJLi19EEEENST_IJLi20EEEENST_IJLi22EEEENST_IJLi21EEEEEEENS5_IJNST_IJLi1ELi2ELi3ELi4ELi5EEEES10_S11_S12_S13_S14_NST_IJLi11EEEENST_IJLi12ELi13EEEENST_IJLi14ELi15EEEENST_IJLi16ELi17EEEENST_IJLi18EEEES17_S18_S1A_S19_NST_IJLi23ELi24EEEENST_IJLi25EEEEEEENST_IJLi23ELi25ELi24EEEElEENSB_INS5_IJSR_SP_SP_SR_SG_EEENS5_IJSU_SV_SW_SY_SX_EEENS5_IJNST_IJLi1ELi2EEEESX_SY_NST_IJLi5ELi6EEEES11_EEENST_IJLi5ELi7ELi6EEEElEENSB_INS5_IJSK_SP_SP_EEENS5_IJSU_SV_SW_EEENS5_IJS1P_SX_SY_EEENST_IJLi3ELi4EEEElEELi128ELi128ELi16ELi1ELi4ELi4ELi1ENST_IJLi8ELi2EEEES1Z_NST_IJLi8ELi1ELi1ELi1EEEENST_IJLi2ELi1ELi128ELi1EEEENST_IJLi1ELi2ELi0ELi3EEEES22_NST_IJLi4ELi1ELi1ELi1EEEES22_NST_IJLi1ELi1ELi1ELi1EEEES20_S21_S22_S22_S23_S22_S24_NST_IJLi0ELi1ELi2ELi3ELi4ELi5EEEELi5ELi4EEEfNS5_IJPKfEEEfS8_S8_S9_NSB_INS5_IJSE_SG_SI_SI_SI_SG_SG_SK_SK_SK_SG_SN_SN_SP_SP_SR_SG_SG_NSQ_INS5_IJiNS_17integral_constantIiLi128EEEEEELb0EEENSF_INS2A_IiLi1EEEEEEEENS5_IJSU_SV_SW_SX_SY_SZ_S10_S11_S12_S13_S14_S15_S16_S17_S18_S19_S1A_NST_IJLi23EEEES1J_NST_IJLi24EEEEEEENS5_IJS1C_S10_S11_S12_S13_S14_S1D_S1E_S1F_S1G_S1H_S17_S18_S1A_S19_S1I_S1J_NST_IJLi26EEEENST_IJLi27ELi28EEEENST_IJLi29EEEEEEENST_IJLi26ELi27ELi28ELi29EEEElEENSB_INS5_IJSR_SP_SP_SR_SG_SG_S2D_S2F_EEENS5_IJSU_SV_SW_SY_SX_SZ_S11_S10_EEENS5_IJS1P_SX_SY_S1Q_S11_S12_NST_IJLi9ELi10EEEES1D_EEENST_IJLi8ELi9ELi10ELi11EEEElEENS5_IJNSB_INS5_IJSK_SP_SP_NSQ_INS5_IJiNS2A_IiLi2EEENS2A_IiLi64EEEEEELb0EEES2Z_EEENS5_IJSU_SV_SW_SX_SY_EEENS5_IJS1P_SX_SY_NST_IJLi5ELi6ELi7EEEENST_IJLi8ELi9ELi10EEEEEEENST_IJLi5ELi6ELi7ELi8ELi9ELi10EEEElEEEEES36_NS_31BlockToCTileMap_M00_N00_M01_N01ILi128ELi128ES1Y_Lb0EEENS1_30ComputePtrOffsetOfStridedBatchILi1ELi1ELi1EvEELb1ELb0EEEvPKT0_S3E_T1_PT2_T3_T4_T5_iT6_T7_T8_T9_T10_T11_: ; @_ZN2ck16tensor_operation6device12_GLOBAL__N_137kernel_grouped_conv_fwd_dl_multiple_dINS_32GridwiseGemmDlMultipleD_km_kn_mnILi256EffNS_5TupleIJfEEEfNS0_12element_wise11PassThroughES8_NS7_7AddReluELNS_25InMemoryDataOperationEnumE0ENS_16TensorDescriptorINS5_IJNS_5EmbedINS5_IJiiiiiEEESD_Lb0EEENS_11PassThroughIiEENS_3PadIiiiLb0EEESI_SI_SG_SG_NSC_INS5_IJiiEEESJ_Lb0EEESK_SK_SG_NS_23Merge_v2_magic_divisionINS5_IJiiiiEEEEESN_NS_8RightPadIiiLb0EEESP_NS_7UnMergeISJ_Lb0EEESG_EEENS5_IJNS_8SequenceIJLi0EEEENST_IJLi1EEEENST_IJLi2EEEENST_IJLi3EEEENST_IJLi4EEEENST_IJLi5EEEENST_IJLi6EEEENST_IJLi7EEEENST_IJLi8EEEENST_IJLi9EEEENST_IJLi10EEEENST_IJLi11ELi13ELi15ELi17EEEENST_IJLi12ELi14ELi16ELi18EEEENST_IJLi19EEEENST_IJLi20EEEENST_IJLi22EEEENST_IJLi21EEEEEEENS5_IJNST_IJLi1ELi2ELi3ELi4ELi5EEEES10_S11_S12_S13_S14_NST_IJLi11EEEENST_IJLi12ELi13EEEENST_IJLi14ELi15EEEENST_IJLi16ELi17EEEENST_IJLi18EEEES17_S18_S1A_S19_NST_IJLi23ELi24EEEENST_IJLi25EEEEEEENST_IJLi23ELi25ELi24EEEElEENSB_INS5_IJSR_SP_SP_SR_SG_EEENS5_IJSU_SV_SW_SY_SX_EEENS5_IJNST_IJLi1ELi2EEEESX_SY_NST_IJLi5ELi6EEEES11_EEENST_IJLi5ELi7ELi6EEEElEENSB_INS5_IJSK_SP_SP_EEENS5_IJSU_SV_SW_EEENS5_IJS1P_SX_SY_EEENST_IJLi3ELi4EEEElEELi128ELi128ELi16ELi1ELi4ELi4ELi1ENST_IJLi8ELi2EEEES1Z_NST_IJLi8ELi1ELi1ELi1EEEENST_IJLi2ELi1ELi128ELi1EEEENST_IJLi1ELi2ELi0ELi3EEEES22_NST_IJLi4ELi1ELi1ELi1EEEES22_NST_IJLi1ELi1ELi1ELi1EEEES20_S21_S22_S22_S23_S22_S24_NST_IJLi0ELi1ELi2ELi3ELi4ELi5EEEELi5ELi4EEEfNS5_IJPKfEEEfS8_S8_S9_NSB_INS5_IJSE_SG_SI_SI_SI_SG_SG_SK_SK_SK_SG_SN_SN_SP_SP_SR_SG_SG_NSQ_INS5_IJiNS_17integral_constantIiLi128EEEEEELb0EEENSF_INS2A_IiLi1EEEEEEEENS5_IJSU_SV_SW_SX_SY_SZ_S10_S11_S12_S13_S14_S15_S16_S17_S18_S19_S1A_NST_IJLi23EEEES1J_NST_IJLi24EEEEEEENS5_IJS1C_S10_S11_S12_S13_S14_S1D_S1E_S1F_S1G_S1H_S17_S18_S1A_S19_S1I_S1J_NST_IJLi26EEEENST_IJLi27ELi28EEEENST_IJLi29EEEEEEENST_IJLi26ELi27ELi28ELi29EEEElEENSB_INS5_IJSR_SP_SP_SR_SG_SG_S2D_S2F_EEENS5_IJSU_SV_SW_SY_SX_SZ_S11_S10_EEENS5_IJS1P_SX_SY_S1Q_S11_S12_NST_IJLi9ELi10EEEES1D_EEENST_IJLi8ELi9ELi10ELi11EEEElEENS5_IJNSB_INS5_IJSK_SP_SP_NSQ_INS5_IJiNS2A_IiLi2EEENS2A_IiLi64EEEEEELb0EEES2Z_EEENS5_IJSU_SV_SW_SX_SY_EEENS5_IJS1P_SX_SY_NST_IJLi5ELi6ELi7EEEENST_IJLi8ELi9ELi10EEEEEEENST_IJLi5ELi6ELi7ELi8ELi9ELi10EEEElEEEEES36_NS_31BlockToCTileMap_M00_N00_M01_N01ILi128ELi128ES1Y_Lb0EEENS1_30ComputePtrOffsetOfStridedBatchILi1ELi1ELi1EvEELb1ELb0EEEvPKT0_S3E_T1_PT2_T3_T4_T5_iT6_T7_T8_T9_T10_T11_
; %bb.0:
	s_add_u32 flat_scratch_lo, s6, s9
	s_mov_b32 s12, s8
	s_load_dwordx8 s[24:31], s[4:5], 0x28
	s_load_dwordx8 s[16:23], s[4:5], 0x0
	s_load_dword s8, s[4:5], 0x24
	s_addc_u32 flat_scratch_hi, s7, 0
	s_add_u32 s0, s0, s9
	s_addc_u32 s1, s1, 0
	s_waitcnt lgkmcnt(0)
	v_mov_b32_e32 v1, s24
	buffer_store_dword v1, off, s[0:3], 0
	v_mov_b32_e32 v1, s25
	buffer_store_dword v1, off, s[0:3], 0 offset:4
	v_mov_b32_e32 v1, s26
	buffer_store_dword v1, off, s[0:3], 0 offset:8
	v_mov_b32_e32 v1, s27
	s_load_dwordx8 s[36:43], s[4:5], 0x48
	buffer_store_dword v1, off, s[0:3], 0 offset:12
	v_mov_b32_e32 v1, s28
	buffer_store_dword v1, off, s[0:3], 0 offset:16
	v_mov_b32_e32 v1, s29
	;; [unrolled: 2-line block ×4, first 2 shown]
	buffer_store_dword v1, off, s[0:3], 0 offset:28
	s_waitcnt lgkmcnt(0)
	v_mov_b32_e32 v1, s36
	buffer_store_dword v1, off, s[0:3], 0 offset:32
	v_mov_b32_e32 v1, s37
	buffer_store_dword v1, off, s[0:3], 0 offset:36
	;; [unrolled: 2-line block ×8, first 2 shown]
	s_load_dwordx8 s[24:31], s[4:5], 0x68
	s_load_dwordx8 s[36:43], s[4:5], 0x88
	;; [unrolled: 1-line block ×8, first 2 shown]
	s_waitcnt lgkmcnt(0)
	v_mov_b32_e32 v1, s83
	buffer_store_dword v1, off, s[0:3], 0 offset:316
	v_mov_b32_e32 v1, s82
	buffer_store_dword v1, off, s[0:3], 0 offset:312
	;; [unrolled: 2-line block ×59, first 2 shown]
	v_mov_b32_e32 v1, s28
	s_load_dwordx8 s[36:43], s[4:5], 0x168
	buffer_store_dword v1, off, s[0:3], 0 offset:80
	v_mov_b32_e32 v1, s27
	buffer_store_dword v1, off, s[0:3], 0 offset:76
	v_mov_b32_e32 v1, s26
	;; [unrolled: 2-line block ×4, first 2 shown]
	buffer_store_dword v1, off, s[0:3], 0 offset:64
	s_waitcnt lgkmcnt(0)
	v_mov_b32_e32 v1, s39
	buffer_store_dword v1, off, s[0:3], 0 offset:332
	v_mov_b32_e32 v1, s38
	buffer_store_dword v1, off, s[0:3], 0 offset:328
	v_mov_b32_e32 v1, s37
	s_load_dwordx8 s[24:31], s[4:5], 0x188
	buffer_store_dword v1, off, s[0:3], 0 offset:324
	v_mov_b32_e32 v1, s36
	buffer_store_dword v1, off, s[0:3], 0 offset:320
	v_mov_b32_e32 v1, s43
	;; [unrolled: 2-line block ×5, first 2 shown]
	buffer_store_dword v1, off, s[0:3], 0 offset:336
	s_waitcnt lgkmcnt(0)
	v_mov_b32_e32 v1, s27
	buffer_store_dword v1, off, s[0:3], 0 offset:364
	v_mov_b32_e32 v1, s26
	buffer_store_dword v1, off, s[0:3], 0 offset:360
	;; [unrolled: 2-line block ×3, first 2 shown]
	v_mov_b32_e32 v1, s24
	s_load_dwordx8 s[36:43], s[4:5], 0x1a8
	buffer_store_dword v1, off, s[0:3], 0 offset:352
	v_mov_b32_e32 v1, s31
	buffer_store_dword v1, off, s[0:3], 0 offset:380
	v_mov_b32_e32 v1, s30
	;; [unrolled: 2-line block ×4, first 2 shown]
	buffer_store_dword v1, off, s[0:3], 0 offset:368
	s_waitcnt lgkmcnt(0)
	v_mov_b32_e32 v1, s39
	buffer_store_dword v1, off, s[0:3], 0 offset:396
	v_mov_b32_e32 v1, s38
	buffer_store_dword v1, off, s[0:3], 0 offset:392
	;; [unrolled: 2-line block ×5, first 2 shown]
	v_mov_b32_e32 v1, s42
	s_load_dwordx8 s[24:31], s[4:5], 0x208
	buffer_store_dword v1, off, s[0:3], 0 offset:408
	v_mov_b32_e32 v1, s41
	buffer_store_dword v1, off, s[0:3], 0 offset:404
	v_mov_b32_e32 v1, s40
	buffer_store_dword v1, off, s[0:3], 0 offset:400
	s_load_dwordx8 s[36:43], s[4:5], 0x1c8
	s_load_dwordx8 s[44:51], s[4:5], 0x1e8
	s_waitcnt lgkmcnt(0)
	v_mov_b32_e32 v1, s27
	buffer_store_dword v1, off, s[0:3], 0 offset:492
	v_mov_b32_e32 v1, s26
	buffer_store_dword v1, off, s[0:3], 0 offset:488
	;; [unrolled: 2-line block ×15, first 2 shown]
	v_mov_b32_e32 v1, s40
	s_load_dwordx8 s[40:47], s[4:5], 0x248
	buffer_store_dword v1, off, s[0:3], 0 offset:432
	v_mov_b32_e32 v1, s39
	buffer_store_dword v1, off, s[0:3], 0 offset:428
	v_mov_b32_e32 v1, s38
	;; [unrolled: 2-line block ×4, first 2 shown]
	buffer_store_dword v1, off, s[0:3], 0 offset:416
	s_waitcnt lgkmcnt(0)
	v_mov_b32_e32 v1, s47
	buffer_store_dword v1, off, s[0:3], 0 offset:572
	v_mov_b32_e32 v1, s46
	buffer_store_dword v1, off, s[0:3], 0 offset:568
	v_mov_b32_e32 v1, s45
	s_load_dwordx8 s[48:55], s[4:5], 0x228
	buffer_store_dword v1, off, s[0:3], 0 offset:564
	v_mov_b32_e32 v1, s44
	buffer_store_dword v1, off, s[0:3], 0 offset:560
	v_mov_b32_e32 v1, s43
	;; [unrolled: 2-line block ×5, first 2 shown]
	buffer_store_dword v1, off, s[0:3], 0 offset:544
	s_waitcnt lgkmcnt(0)
	v_mov_b32_e32 v1, s55
	buffer_store_dword v1, off, s[0:3], 0 offset:540
	v_mov_b32_e32 v1, s54
	buffer_store_dword v1, off, s[0:3], 0 offset:536
	;; [unrolled: 2-line block ×6, first 2 shown]
	v_mov_b32_e32 v1, s49
	s_mov_b64 s[6:7], src_private_base
	buffer_store_dword v1, off, s[0:3], 0 offset:516
	v_mov_b32_e32 v1, s48
	buffer_store_dword v1, off, s[0:3], 0 offset:512
	v_mov_b32_e32 v1, s31
	s_abs_i32 s6, s8
	buffer_store_dword v1, off, s[0:3], 0 offset:508
	v_mov_b32_e32 v1, s30
	s_load_dwordx4 s[52:55], s[4:5], 0x2c8
	v_cvt_f32_u32_e32 v2, s6
	buffer_store_dword v1, off, s[0:3], 0 offset:504
	v_mov_b32_e32 v1, s29
	buffer_store_dword v1, off, s[0:3], 0 offset:500
	v_mov_b32_e32 v1, s28
	buffer_store_dword v1, off, s[0:3], 0 offset:496
	s_load_dwordx8 s[24:31], s[4:5], 0x268
	s_load_dwordx8 s[36:43], s[4:5], 0x288
	;; [unrolled: 1-line block ×3, first 2 shown]
	s_load_dword s9, s[4:5], 0x300
	v_rcp_iflag_f32_e32 v2, v2
	s_waitcnt lgkmcnt(0)
	v_mov_b32_e32 v1, s55
	buffer_store_dword v1, off, s[0:3], 0 offset:684
	v_mov_b32_e32 v1, s54
	buffer_store_dword v1, off, s[0:3], 0 offset:680
	;; [unrolled: 2-line block ×3, first 2 shown]
	v_mov_b32_e32 v1, s52
	v_mul_f32_e32 v2, 0x4f7ffffe, v2
	buffer_store_dword v1, off, s[0:3], 0 offset:672
	v_mov_b32_e32 v1, s51
	v_cvt_u32_f32_e32 v2, v2
	buffer_store_dword v1, off, s[0:3], 0 offset:668
	v_mov_b32_e32 v1, s50
	buffer_store_dword v1, off, s[0:3], 0 offset:664
	v_mov_b32_e32 v1, s49
	;; [unrolled: 2-line block ×4, first 2 shown]
	s_sub_i32 s10, 0, s6
	v_readfirstlane_b32 s11, v2
	buffer_store_dword v1, off, s[0:3], 0 offset:652
	v_mov_b32_e32 v1, s46
	s_mul_i32 s10, s10, s11
	buffer_store_dword v1, off, s[0:3], 0 offset:648
	v_mov_b32_e32 v1, s45
	s_mul_hi_u32 s10, s11, s10
	buffer_store_dword v1, off, s[0:3], 0 offset:644
	v_mov_b32_e32 v1, s44
	s_xor_b32 s8, s9, s8
	s_abs_i32 s9, s9
	s_add_i32 s11, s11, s10
	buffer_store_dword v1, off, s[0:3], 0 offset:640
	v_mov_b32_e32 v1, s43
	s_mul_hi_u32 s10, s9, s11
	buffer_store_dword v1, off, s[0:3], 0 offset:636
	v_mov_b32_e32 v1, s42
	s_mul_i32 s11, s10, s6
	buffer_store_dword v1, off, s[0:3], 0 offset:632
	v_mov_b32_e32 v1, s41
	s_sub_i32 s9, s9, s11
	buffer_store_dword v1, off, s[0:3], 0 offset:628
	v_mov_b32_e32 v1, s40
	s_ashr_i32 s8, s8, 31
	s_add_i32 s11, s10, 1
	s_sub_i32 s13, s9, s6
	buffer_store_dword v1, off, s[0:3], 0 offset:624
	v_mov_b32_e32 v1, s39
	s_cmp_ge_u32 s9, s6
	buffer_store_dword v1, off, s[0:3], 0 offset:620
	v_mov_b32_e32 v1, s38
	s_cselect_b32 s10, s11, s10
	buffer_store_dword v1, off, s[0:3], 0 offset:616
	v_mov_b32_e32 v1, s37
	s_cselect_b32 s9, s13, s9
	s_add_i32 s11, s10, 1
	buffer_store_dword v1, off, s[0:3], 0 offset:612
	v_mov_b32_e32 v1, s36
	s_cmp_ge_u32 s9, s6
	buffer_store_dword v1, off, s[0:3], 0 offset:608
	v_mov_b32_e32 v1, s31
	s_cselect_b32 s6, s11, s10
	buffer_store_dword v1, off, s[0:3], 0 offset:604
	v_mov_b32_e32 v1, s30
	s_xor_b32 s6, s6, s8
	buffer_store_dword v1, off, s[0:3], 0 offset:600
	v_mov_b32_e32 v1, s29
	s_sub_i32 s6, s6, s8
	buffer_store_dword v1, off, s[0:3], 0 offset:596
	v_mov_b32_e32 v1, s28
	s_abs_i32 s8, s6
	buffer_store_dword v1, off, s[0:3], 0 offset:592
	v_mov_b32_e32 v1, s27
	v_cvt_f32_u32_e32 v2, s8
	buffer_store_dword v1, off, s[0:3], 0 offset:588
	v_mov_b32_e32 v1, s26
	buffer_store_dword v1, off, s[0:3], 0 offset:584
	v_mov_b32_e32 v1, s25
	;; [unrolled: 2-line block ×3, first 2 shown]
	buffer_store_dword v1, off, s[0:3], 0 offset:576
	v_rcp_iflag_f32_e32 v1, v2
	s_sub_i32 s11, 0, s8
	s_abs_i32 s10, s12
	s_xor_b32 s6, s12, s6
	v_mul_f32_e32 v1, 0x4f7ffffe, v1
	v_cvt_u32_f32_e32 v1, v1
	s_ashr_i32 s6, s6, 31
	s_load_dwordx8 s[24:31], s[4:5], 0x2d8
	s_mov_b32 s9, 0
	v_readfirstlane_b32 s13, v1
	s_mul_i32 s11, s11, s13
	s_mul_hi_u32 s11, s13, s11
	s_add_i32 s13, s13, s11
	s_mul_hi_u32 s11, s10, s13
	s_mul_i32 s13, s11, s8
	s_sub_i32 s10, s10, s13
	s_add_i32 s13, s11, 1
	s_sub_i32 s14, s10, s8
	s_cmp_ge_u32 s10, s8
	s_cselect_b32 s11, s13, s11
	s_cselect_b32 s10, s14, s10
	s_add_i32 s13, s11, 1
	s_cmp_ge_u32 s10, s8
	s_cselect_b32 s8, s13, s11
	s_xor_b32 s8, s8, s6
	s_sub_i32 s6, s8, s6
	s_ashr_i32 s13, s6, 31
	s_waitcnt lgkmcnt(0)
	s_mul_i32 s8, s24, s13
	s_mul_hi_u32 s10, s24, s6
	s_add_i32 s8, s10, s8
	s_mul_i32 s10, s25, s6
	s_add_i32 s33, s8, s10
	s_mul_i32 s8, s24, s6
	s_mul_i32 s10, s26, s13
	;; [unrolled: 1-line block ×4, first 2 shown]
	s_mul_hi_u32 s24, s28, s6
	s_mul_hi_u32 s11, s26, s6
	;; [unrolled: 1-line block ×3, first 2 shown]
	s_add_i32 s13, s24, s13
	s_mul_i32 s24, s29, s6
	s_add_i32 s10, s11, s10
	s_mul_i32 s11, s27, s6
	;; [unrolled: 2-line block ×5, first 2 shown]
	s_add_i32 s26, s14, s15
	s_lshl_b64 s[24:25], s[24:25], 2
	s_mul_i32 s14, s30, s6
	s_add_u32 s6, s20, s24
	s_addc_u32 s13, s21, s25
	s_lshl_b32 s21, s33, 2
	s_mov_b32 s20, s9
	s_lshl_b64 s[24:25], s[8:9], 2
	s_or_b64 s[20:21], s[20:21], s[24:25]
	s_mov_b32 s11, s9
	s_add_u32 s20, s16, s20
	s_addc_u32 s21, s17, s21
	s_lshl_b32 s17, s27, 2
	s_mov_b32 s16, s9
	s_lshl_b64 s[10:11], s[10:11], 2
	s_or_b64 s[10:11], s[16:17], s[10:11]
	s_mov_b32 s15, s9
	s_add_u32 s16, s18, s10
	s_addc_u32 s17, s19, s11
	s_lshl_b32 s11, s26, 2
	s_mov_b32 s10, s9
	s_lshl_b64 s[8:9], s[14:15], 2
	s_or_b64 s[8:9], s[10:11], s[8:9]
	s_add_u32 s10, s22, s8
	s_addc_u32 s11, s23, s9
	s_add_u32 s8, s4, 0x300
	s_addc_u32 s9, s5, 0
	v_mov_b32_e32 v31, v0
	v_mov_b32_e32 v0, s20
	;; [unrolled: 1-line block ×19, first 2 shown]
	s_mov_b32 s32, 0xb000
	s_getpc_b64 s[4:5]
	s_add_u32 s4, s4, _ZN2ck32GridwiseGemmDlMultipleD_km_kn_mnILi256EffNS_5TupleIJfEEEfNS_16tensor_operation12element_wise11PassThroughES5_NS4_7AddReluELNS_25InMemoryDataOperationEnumE0ENS_16TensorDescriptorINS1_IJNS_5EmbedINS1_IJiiiiiEEESA_Lb0EEENS_11PassThroughIiEENS_3PadIiiiLb0EEESF_SF_SD_SD_NS9_INS1_IJiiEEESG_Lb0EEESH_SH_SD_NS_23Merge_v2_magic_divisionINS1_IJiiiiEEEEESK_NS_8RightPadIiiLb0EEESM_NS_7UnMergeISG_Lb0EEESD_EEENS1_IJNS_8SequenceIJLi0EEEENSQ_IJLi1EEEENSQ_IJLi2EEEENSQ_IJLi3EEEENSQ_IJLi4EEEENSQ_IJLi5EEEENSQ_IJLi6EEEENSQ_IJLi7EEEENSQ_IJLi8EEEENSQ_IJLi9EEEENSQ_IJLi10EEEENSQ_IJLi11ELi13ELi15ELi17EEEENSQ_IJLi12ELi14ELi16ELi18EEEENSQ_IJLi19EEEENSQ_IJLi20EEEENSQ_IJLi22EEEENSQ_IJLi21EEEEEEENS1_IJNSQ_IJLi1ELi2ELi3ELi4ELi5EEEESX_SY_SZ_S10_S11_NSQ_IJLi11EEEENSQ_IJLi12ELi13EEEENSQ_IJLi14ELi15EEEENSQ_IJLi16ELi17EEEENSQ_IJLi18EEEES14_S15_S17_S16_NSQ_IJLi23ELi24EEEENSQ_IJLi25EEEEEEENSQ_IJLi23ELi25ELi24EEEElEENS8_INS1_IJSO_SM_SM_SO_SD_EEENS1_IJSR_SS_ST_SV_SU_EEENS1_IJNSQ_IJLi1ELi2EEEESU_SV_NSQ_IJLi5ELi6EEEESY_EEENSQ_IJLi5ELi7ELi6EEEElEENS8_INS1_IJSH_SM_SM_EEENS1_IJSR_SS_ST_EEENS1_IJS1M_SU_SV_EEENSQ_IJLi3ELi4EEEElEELi128ELi128ELi16ELi1ELi4ELi4ELi1ENSQ_IJLi8ELi2EEEES1W_NSQ_IJLi8ELi1ELi1ELi1EEEENSQ_IJLi2ELi1ELi128ELi1EEEENSQ_IJLi1ELi2ELi0ELi3EEEES1Z_NSQ_IJLi4ELi1ELi1ELi1EEEES1Z_NSQ_IJLi1ELi1ELi1ELi1EEEES1X_S1Y_S1Z_S1Z_S20_S1Z_S21_NSQ_IJLi0ELi1ELi2ELi3ELi4ELi5EEEELi5ELi4EE3RunINS1_IJNS8_INS1_IJSH_SM_SM_NSN_INS1_IJiNS_17integral_constantIiLi2EEENS25_IiLi64EEEEEELb0EEES29_EEENS1_IJSR_SS_ST_SU_SV_EEENS1_IJS1M_SU_SV_NSQ_IJLi5ELi6ELi7EEEENSQ_IJLi8ELi9ELi10EEEEEEENSQ_IJLi5ELi6ELi7ELi8ELi9ELi10EEEElEEEEELb1ELb0ENS_31BlockToCTileMap_M00_N00_M01_N01ILi128ELi128ES1V_Lb0EEEEEvPKfS2L_NS1_IJS2L_EEEPfPvRKS5_S2Q_RKS6_RKNS8_INS1_IJSB_SD_SF_SF_SF_SD_SD_SH_SH_SH_SD_SK_SK_SM_SM_SO_SD_SD_NSN_INS1_IJiNS25_IiLi128EEEEEELb0EEENSC_INS25_IiLi1EEEEEEEENS1_IJSR_SS_ST_SU_SV_SW_SX_SY_SZ_S10_S11_S12_S13_S14_S15_S16_S17_NSQ_IJLi23EEEES1G_NSQ_IJLi24EEEEEEENS1_IJS19_SX_SY_SZ_S10_S11_S1A_S1B_S1C_S1D_S1E_S14_S15_S17_S16_S1F_S1G_NSQ_IJLi26EEEENSQ_IJLi27ELi28EEEENSQ_IJLi29EEEEEEENSQ_IJLi26ELi27ELi28ELi29EEEElEERKNS8_INS1_IJSO_SM_SM_SO_SD_SD_S2V_S2X_EEENS1_IJSR_SS_ST_SV_SU_SW_SY_SX_EEENS1_IJS1M_SU_SV_S1N_SY_SZ_NSQ_IJLi9ELi10EEEES1A_EEENSQ_IJLi8ELi9ELi10ELi11EEEElEERKT_RKS2G_RKT2_NS25_IbXT0_EEENS25_IbXT1_EEE@rel32@lo+4
	s_addc_u32 s5, s5, _ZN2ck32GridwiseGemmDlMultipleD_km_kn_mnILi256EffNS_5TupleIJfEEEfNS_16tensor_operation12element_wise11PassThroughES5_NS4_7AddReluELNS_25InMemoryDataOperationEnumE0ENS_16TensorDescriptorINS1_IJNS_5EmbedINS1_IJiiiiiEEESA_Lb0EEENS_11PassThroughIiEENS_3PadIiiiLb0EEESF_SF_SD_SD_NS9_INS1_IJiiEEESG_Lb0EEESH_SH_SD_NS_23Merge_v2_magic_divisionINS1_IJiiiiEEEEESK_NS_8RightPadIiiLb0EEESM_NS_7UnMergeISG_Lb0EEESD_EEENS1_IJNS_8SequenceIJLi0EEEENSQ_IJLi1EEEENSQ_IJLi2EEEENSQ_IJLi3EEEENSQ_IJLi4EEEENSQ_IJLi5EEEENSQ_IJLi6EEEENSQ_IJLi7EEEENSQ_IJLi8EEEENSQ_IJLi9EEEENSQ_IJLi10EEEENSQ_IJLi11ELi13ELi15ELi17EEEENSQ_IJLi12ELi14ELi16ELi18EEEENSQ_IJLi19EEEENSQ_IJLi20EEEENSQ_IJLi22EEEENSQ_IJLi21EEEEEEENS1_IJNSQ_IJLi1ELi2ELi3ELi4ELi5EEEESX_SY_SZ_S10_S11_NSQ_IJLi11EEEENSQ_IJLi12ELi13EEEENSQ_IJLi14ELi15EEEENSQ_IJLi16ELi17EEEENSQ_IJLi18EEEES14_S15_S17_S16_NSQ_IJLi23ELi24EEEENSQ_IJLi25EEEEEEENSQ_IJLi23ELi25ELi24EEEElEENS8_INS1_IJSO_SM_SM_SO_SD_EEENS1_IJSR_SS_ST_SV_SU_EEENS1_IJNSQ_IJLi1ELi2EEEESU_SV_NSQ_IJLi5ELi6EEEESY_EEENSQ_IJLi5ELi7ELi6EEEElEENS8_INS1_IJSH_SM_SM_EEENS1_IJSR_SS_ST_EEENS1_IJS1M_SU_SV_EEENSQ_IJLi3ELi4EEEElEELi128ELi128ELi16ELi1ELi4ELi4ELi1ENSQ_IJLi8ELi2EEEES1W_NSQ_IJLi8ELi1ELi1ELi1EEEENSQ_IJLi2ELi1ELi128ELi1EEEENSQ_IJLi1ELi2ELi0ELi3EEEES1Z_NSQ_IJLi4ELi1ELi1ELi1EEEES1Z_NSQ_IJLi1ELi1ELi1ELi1EEEES1X_S1Y_S1Z_S1Z_S20_S1Z_S21_NSQ_IJLi0ELi1ELi2ELi3ELi4ELi5EEEELi5ELi4EE3RunINS1_IJNS8_INS1_IJSH_SM_SM_NSN_INS1_IJiNS_17integral_constantIiLi2EEENS25_IiLi64EEEEEELb0EEES29_EEENS1_IJSR_SS_ST_SU_SV_EEENS1_IJS1M_SU_SV_NSQ_IJLi5ELi6ELi7EEEENSQ_IJLi8ELi9ELi10EEEEEEENSQ_IJLi5ELi6ELi7ELi8ELi9ELi10EEEElEEEEELb1ELb0ENS_31BlockToCTileMap_M00_N00_M01_N01ILi128ELi128ES1V_Lb0EEEEEvPKfS2L_NS1_IJS2L_EEEPfPvRKS5_S2Q_RKS6_RKNS8_INS1_IJSB_SD_SF_SF_SF_SD_SD_SH_SH_SH_SD_SK_SK_SM_SM_SO_SD_SD_NSN_INS1_IJiNS25_IiLi128EEEEEELb0EEENSC_INS25_IiLi1EEEEEEEENS1_IJSR_SS_ST_SU_SV_SW_SX_SY_SZ_S10_S11_S12_S13_S14_S15_S16_S17_NSQ_IJLi23EEEES1G_NSQ_IJLi24EEEEEEENS1_IJS19_SX_SY_SZ_S10_S11_S1A_S1B_S1C_S1D_S1E_S14_S15_S17_S16_S1F_S1G_NSQ_IJLi26EEEENSQ_IJLi27ELi28EEEENSQ_IJLi29EEEEEEENSQ_IJLi26ELi27ELi28ELi29EEEElEERKNS8_INS1_IJSO_SM_SM_SO_SD_SD_S2V_S2X_EEENS1_IJSR_SS_ST_SV_SU_SW_SY_SX_EEENS1_IJS1M_SU_SV_S1N_SY_SZ_NSQ_IJLi9ELi10EEEES1A_EEENSQ_IJLi8ELi9ELi10ELi11EEEElEERKT_RKS2G_RKT2_NS25_IbXT0_EEENS25_IbXT1_EEE@rel32@hi+12
	s_swappc_b64 s[30:31], s[4:5]
	s_endpgm
	.section	.rodata,"a",@progbits
	.p2align	6, 0x0
	.amdhsa_kernel _ZN2ck16tensor_operation6device12_GLOBAL__N_137kernel_grouped_conv_fwd_dl_multiple_dINS_32GridwiseGemmDlMultipleD_km_kn_mnILi256EffNS_5TupleIJfEEEfNS0_12element_wise11PassThroughES8_NS7_7AddReluELNS_25InMemoryDataOperationEnumE0ENS_16TensorDescriptorINS5_IJNS_5EmbedINS5_IJiiiiiEEESD_Lb0EEENS_11PassThroughIiEENS_3PadIiiiLb0EEESI_SI_SG_SG_NSC_INS5_IJiiEEESJ_Lb0EEESK_SK_SG_NS_23Merge_v2_magic_divisionINS5_IJiiiiEEEEESN_NS_8RightPadIiiLb0EEESP_NS_7UnMergeISJ_Lb0EEESG_EEENS5_IJNS_8SequenceIJLi0EEEENST_IJLi1EEEENST_IJLi2EEEENST_IJLi3EEEENST_IJLi4EEEENST_IJLi5EEEENST_IJLi6EEEENST_IJLi7EEEENST_IJLi8EEEENST_IJLi9EEEENST_IJLi10EEEENST_IJLi11ELi13ELi15ELi17EEEENST_IJLi12ELi14ELi16ELi18EEEENST_IJLi19EEEENST_IJLi20EEEENST_IJLi22EEEENST_IJLi21EEEEEEENS5_IJNST_IJLi1ELi2ELi3ELi4ELi5EEEES10_S11_S12_S13_S14_NST_IJLi11EEEENST_IJLi12ELi13EEEENST_IJLi14ELi15EEEENST_IJLi16ELi17EEEENST_IJLi18EEEES17_S18_S1A_S19_NST_IJLi23ELi24EEEENST_IJLi25EEEEEEENST_IJLi23ELi25ELi24EEEElEENSB_INS5_IJSR_SP_SP_SR_SG_EEENS5_IJSU_SV_SW_SY_SX_EEENS5_IJNST_IJLi1ELi2EEEESX_SY_NST_IJLi5ELi6EEEES11_EEENST_IJLi5ELi7ELi6EEEElEENSB_INS5_IJSK_SP_SP_EEENS5_IJSU_SV_SW_EEENS5_IJS1P_SX_SY_EEENST_IJLi3ELi4EEEElEELi128ELi128ELi16ELi1ELi4ELi4ELi1ENST_IJLi8ELi2EEEES1Z_NST_IJLi8ELi1ELi1ELi1EEEENST_IJLi2ELi1ELi128ELi1EEEENST_IJLi1ELi2ELi0ELi3EEEES22_NST_IJLi4ELi1ELi1ELi1EEEES22_NST_IJLi1ELi1ELi1ELi1EEEES20_S21_S22_S22_S23_S22_S24_NST_IJLi0ELi1ELi2ELi3ELi4ELi5EEEELi5ELi4EEEfNS5_IJPKfEEEfS8_S8_S9_NSB_INS5_IJSE_SG_SI_SI_SI_SG_SG_SK_SK_SK_SG_SN_SN_SP_SP_SR_SG_SG_NSQ_INS5_IJiNS_17integral_constantIiLi128EEEEEELb0EEENSF_INS2A_IiLi1EEEEEEEENS5_IJSU_SV_SW_SX_SY_SZ_S10_S11_S12_S13_S14_S15_S16_S17_S18_S19_S1A_NST_IJLi23EEEES1J_NST_IJLi24EEEEEEENS5_IJS1C_S10_S11_S12_S13_S14_S1D_S1E_S1F_S1G_S1H_S17_S18_S1A_S19_S1I_S1J_NST_IJLi26EEEENST_IJLi27ELi28EEEENST_IJLi29EEEEEEENST_IJLi26ELi27ELi28ELi29EEEElEENSB_INS5_IJSR_SP_SP_SR_SG_SG_S2D_S2F_EEENS5_IJSU_SV_SW_SY_SX_SZ_S11_S10_EEENS5_IJS1P_SX_SY_S1Q_S11_S12_NST_IJLi9ELi10EEEES1D_EEENST_IJLi8ELi9ELi10ELi11EEEElEENS5_IJNSB_INS5_IJSK_SP_SP_NSQ_INS5_IJiNS2A_IiLi2EEENS2A_IiLi64EEEEEELb0EEES2Z_EEENS5_IJSU_SV_SW_SX_SY_EEENS5_IJS1P_SX_SY_NST_IJLi5ELi6ELi7EEEENST_IJLi8ELi9ELi10EEEEEEENST_IJLi5ELi6ELi7ELi8ELi9ELi10EEEElEEEEES36_NS_31BlockToCTileMap_M00_N00_M01_N01ILi128ELi128ES1Y_Lb0EEENS1_30ComputePtrOffsetOfStridedBatchILi1ELi1ELi1EvEELb1ELb0EEEvPKT0_S3E_T1_PT2_T3_T4_T5_iT6_T7_T8_T9_T10_T11_
		.amdhsa_group_segment_fixed_size 32768
		.amdhsa_private_segment_fixed_size 704
		.amdhsa_kernarg_size 1024
		.amdhsa_user_sgpr_count 8
		.amdhsa_user_sgpr_private_segment_buffer 1
		.amdhsa_user_sgpr_dispatch_ptr 0
		.amdhsa_user_sgpr_queue_ptr 0
		.amdhsa_user_sgpr_kernarg_segment_ptr 1
		.amdhsa_user_sgpr_dispatch_id 0
		.amdhsa_user_sgpr_flat_scratch_init 1
		.amdhsa_user_sgpr_kernarg_preload_length 0
		.amdhsa_user_sgpr_kernarg_preload_offset 0
		.amdhsa_user_sgpr_private_segment_size 0
		.amdhsa_uses_dynamic_stack 0
		.amdhsa_system_sgpr_private_segment_wavefront_offset 1
		.amdhsa_system_sgpr_workgroup_id_x 1
		.amdhsa_system_sgpr_workgroup_id_y 0
		.amdhsa_system_sgpr_workgroup_id_z 0
		.amdhsa_system_sgpr_workgroup_info 0
		.amdhsa_system_vgpr_workitem_id 0
		.amdhsa_next_free_vgpr 146
		.amdhsa_next_free_sgpr 92
		.amdhsa_accum_offset 128
		.amdhsa_reserve_vcc 1
		.amdhsa_reserve_flat_scratch 1
		.amdhsa_float_round_mode_32 0
		.amdhsa_float_round_mode_16_64 0
		.amdhsa_float_denorm_mode_32 3
		.amdhsa_float_denorm_mode_16_64 3
		.amdhsa_dx10_clamp 1
		.amdhsa_ieee_mode 1
		.amdhsa_fp16_overflow 0
		.amdhsa_tg_split 0
		.amdhsa_exception_fp_ieee_invalid_op 0
		.amdhsa_exception_fp_denorm_src 0
		.amdhsa_exception_fp_ieee_div_zero 0
		.amdhsa_exception_fp_ieee_overflow 0
		.amdhsa_exception_fp_ieee_underflow 0
		.amdhsa_exception_fp_ieee_inexact 0
		.amdhsa_exception_int_div_zero 0
	.end_amdhsa_kernel
	.section	.text._ZN2ck16tensor_operation6device12_GLOBAL__N_137kernel_grouped_conv_fwd_dl_multiple_dINS_32GridwiseGemmDlMultipleD_km_kn_mnILi256EffNS_5TupleIJfEEEfNS0_12element_wise11PassThroughES8_NS7_7AddReluELNS_25InMemoryDataOperationEnumE0ENS_16TensorDescriptorINS5_IJNS_5EmbedINS5_IJiiiiiEEESD_Lb0EEENS_11PassThroughIiEENS_3PadIiiiLb0EEESI_SI_SG_SG_NSC_INS5_IJiiEEESJ_Lb0EEESK_SK_SG_NS_23Merge_v2_magic_divisionINS5_IJiiiiEEEEESN_NS_8RightPadIiiLb0EEESP_NS_7UnMergeISJ_Lb0EEESG_EEENS5_IJNS_8SequenceIJLi0EEEENST_IJLi1EEEENST_IJLi2EEEENST_IJLi3EEEENST_IJLi4EEEENST_IJLi5EEEENST_IJLi6EEEENST_IJLi7EEEENST_IJLi8EEEENST_IJLi9EEEENST_IJLi10EEEENST_IJLi11ELi13ELi15ELi17EEEENST_IJLi12ELi14ELi16ELi18EEEENST_IJLi19EEEENST_IJLi20EEEENST_IJLi22EEEENST_IJLi21EEEEEEENS5_IJNST_IJLi1ELi2ELi3ELi4ELi5EEEES10_S11_S12_S13_S14_NST_IJLi11EEEENST_IJLi12ELi13EEEENST_IJLi14ELi15EEEENST_IJLi16ELi17EEEENST_IJLi18EEEES17_S18_S1A_S19_NST_IJLi23ELi24EEEENST_IJLi25EEEEEEENST_IJLi23ELi25ELi24EEEElEENSB_INS5_IJSR_SP_SP_SR_SG_EEENS5_IJSU_SV_SW_SY_SX_EEENS5_IJNST_IJLi1ELi2EEEESX_SY_NST_IJLi5ELi6EEEES11_EEENST_IJLi5ELi7ELi6EEEElEENSB_INS5_IJSK_SP_SP_EEENS5_IJSU_SV_SW_EEENS5_IJS1P_SX_SY_EEENST_IJLi3ELi4EEEElEELi128ELi128ELi16ELi1ELi4ELi4ELi1ENST_IJLi8ELi2EEEES1Z_NST_IJLi8ELi1ELi1ELi1EEEENST_IJLi2ELi1ELi128ELi1EEEENST_IJLi1ELi2ELi0ELi3EEEES22_NST_IJLi4ELi1ELi1ELi1EEEES22_NST_IJLi1ELi1ELi1ELi1EEEES20_S21_S22_S22_S23_S22_S24_NST_IJLi0ELi1ELi2ELi3ELi4ELi5EEEELi5ELi4EEEfNS5_IJPKfEEEfS8_S8_S9_NSB_INS5_IJSE_SG_SI_SI_SI_SG_SG_SK_SK_SK_SG_SN_SN_SP_SP_SR_SG_SG_NSQ_INS5_IJiNS_17integral_constantIiLi128EEEEEELb0EEENSF_INS2A_IiLi1EEEEEEEENS5_IJSU_SV_SW_SX_SY_SZ_S10_S11_S12_S13_S14_S15_S16_S17_S18_S19_S1A_NST_IJLi23EEEES1J_NST_IJLi24EEEEEEENS5_IJS1C_S10_S11_S12_S13_S14_S1D_S1E_S1F_S1G_S1H_S17_S18_S1A_S19_S1I_S1J_NST_IJLi26EEEENST_IJLi27ELi28EEEENST_IJLi29EEEEEEENST_IJLi26ELi27ELi28ELi29EEEElEENSB_INS5_IJSR_SP_SP_SR_SG_SG_S2D_S2F_EEENS5_IJSU_SV_SW_SY_SX_SZ_S11_S10_EEENS5_IJS1P_SX_SY_S1Q_S11_S12_NST_IJLi9ELi10EEEES1D_EEENST_IJLi8ELi9ELi10ELi11EEEElEENS5_IJNSB_INS5_IJSK_SP_SP_NSQ_INS5_IJiNS2A_IiLi2EEENS2A_IiLi64EEEEEELb0EEES2Z_EEENS5_IJSU_SV_SW_SX_SY_EEENS5_IJS1P_SX_SY_NST_IJLi5ELi6ELi7EEEENST_IJLi8ELi9ELi10EEEEEEENST_IJLi5ELi6ELi7ELi8ELi9ELi10EEEElEEEEES36_NS_31BlockToCTileMap_M00_N00_M01_N01ILi128ELi128ES1Y_Lb0EEENS1_30ComputePtrOffsetOfStridedBatchILi1ELi1ELi1EvEELb1ELb0EEEvPKT0_S3E_T1_PT2_T3_T4_T5_iT6_T7_T8_T9_T10_T11_,"axG",@progbits,_ZN2ck16tensor_operation6device12_GLOBAL__N_137kernel_grouped_conv_fwd_dl_multiple_dINS_32GridwiseGemmDlMultipleD_km_kn_mnILi256EffNS_5TupleIJfEEEfNS0_12element_wise11PassThroughES8_NS7_7AddReluELNS_25InMemoryDataOperationEnumE0ENS_16TensorDescriptorINS5_IJNS_5EmbedINS5_IJiiiiiEEESD_Lb0EEENS_11PassThroughIiEENS_3PadIiiiLb0EEESI_SI_SG_SG_NSC_INS5_IJiiEEESJ_Lb0EEESK_SK_SG_NS_23Merge_v2_magic_divisionINS5_IJiiiiEEEEESN_NS_8RightPadIiiLb0EEESP_NS_7UnMergeISJ_Lb0EEESG_EEENS5_IJNS_8SequenceIJLi0EEEENST_IJLi1EEEENST_IJLi2EEEENST_IJLi3EEEENST_IJLi4EEEENST_IJLi5EEEENST_IJLi6EEEENST_IJLi7EEEENST_IJLi8EEEENST_IJLi9EEEENST_IJLi10EEEENST_IJLi11ELi13ELi15ELi17EEEENST_IJLi12ELi14ELi16ELi18EEEENST_IJLi19EEEENST_IJLi20EEEENST_IJLi22EEEENST_IJLi21EEEEEEENS5_IJNST_IJLi1ELi2ELi3ELi4ELi5EEEES10_S11_S12_S13_S14_NST_IJLi11EEEENST_IJLi12ELi13EEEENST_IJLi14ELi15EEEENST_IJLi16ELi17EEEENST_IJLi18EEEES17_S18_S1A_S19_NST_IJLi23ELi24EEEENST_IJLi25EEEEEEENST_IJLi23ELi25ELi24EEEElEENSB_INS5_IJSR_SP_SP_SR_SG_EEENS5_IJSU_SV_SW_SY_SX_EEENS5_IJNST_IJLi1ELi2EEEESX_SY_NST_IJLi5ELi6EEEES11_EEENST_IJLi5ELi7ELi6EEEElEENSB_INS5_IJSK_SP_SP_EEENS5_IJSU_SV_SW_EEENS5_IJS1P_SX_SY_EEENST_IJLi3ELi4EEEElEELi128ELi128ELi16ELi1ELi4ELi4ELi1ENST_IJLi8ELi2EEEES1Z_NST_IJLi8ELi1ELi1ELi1EEEENST_IJLi2ELi1ELi128ELi1EEEENST_IJLi1ELi2ELi0ELi3EEEES22_NST_IJLi4ELi1ELi1ELi1EEEES22_NST_IJLi1ELi1ELi1ELi1EEEES20_S21_S22_S22_S23_S22_S24_NST_IJLi0ELi1ELi2ELi3ELi4ELi5EEEELi5ELi4EEEfNS5_IJPKfEEEfS8_S8_S9_NSB_INS5_IJSE_SG_SI_SI_SI_SG_SG_SK_SK_SK_SG_SN_SN_SP_SP_SR_SG_SG_NSQ_INS5_IJiNS_17integral_constantIiLi128EEEEEELb0EEENSF_INS2A_IiLi1EEEEEEEENS5_IJSU_SV_SW_SX_SY_SZ_S10_S11_S12_S13_S14_S15_S16_S17_S18_S19_S1A_NST_IJLi23EEEES1J_NST_IJLi24EEEEEEENS5_IJS1C_S10_S11_S12_S13_S14_S1D_S1E_S1F_S1G_S1H_S17_S18_S1A_S19_S1I_S1J_NST_IJLi26EEEENST_IJLi27ELi28EEEENST_IJLi29EEEEEEENST_IJLi26ELi27ELi28ELi29EEEElEENSB_INS5_IJSR_SP_SP_SR_SG_SG_S2D_S2F_EEENS5_IJSU_SV_SW_SY_SX_SZ_S11_S10_EEENS5_IJS1P_SX_SY_S1Q_S11_S12_NST_IJLi9ELi10EEEES1D_EEENST_IJLi8ELi9ELi10ELi11EEEElEENS5_IJNSB_INS5_IJSK_SP_SP_NSQ_INS5_IJiNS2A_IiLi2EEENS2A_IiLi64EEEEEELb0EEES2Z_EEENS5_IJSU_SV_SW_SX_SY_EEENS5_IJS1P_SX_SY_NST_IJLi5ELi6ELi7EEEENST_IJLi8ELi9ELi10EEEEEEENST_IJLi5ELi6ELi7ELi8ELi9ELi10EEEElEEEEES36_NS_31BlockToCTileMap_M00_N00_M01_N01ILi128ELi128ES1Y_Lb0EEENS1_30ComputePtrOffsetOfStridedBatchILi1ELi1ELi1EvEELb1ELb0EEEvPKT0_S3E_T1_PT2_T3_T4_T5_iT6_T7_T8_T9_T10_T11_,comdat
.Lfunc_end16:
	.size	_ZN2ck16tensor_operation6device12_GLOBAL__N_137kernel_grouped_conv_fwd_dl_multiple_dINS_32GridwiseGemmDlMultipleD_km_kn_mnILi256EffNS_5TupleIJfEEEfNS0_12element_wise11PassThroughES8_NS7_7AddReluELNS_25InMemoryDataOperationEnumE0ENS_16TensorDescriptorINS5_IJNS_5EmbedINS5_IJiiiiiEEESD_Lb0EEENS_11PassThroughIiEENS_3PadIiiiLb0EEESI_SI_SG_SG_NSC_INS5_IJiiEEESJ_Lb0EEESK_SK_SG_NS_23Merge_v2_magic_divisionINS5_IJiiiiEEEEESN_NS_8RightPadIiiLb0EEESP_NS_7UnMergeISJ_Lb0EEESG_EEENS5_IJNS_8SequenceIJLi0EEEENST_IJLi1EEEENST_IJLi2EEEENST_IJLi3EEEENST_IJLi4EEEENST_IJLi5EEEENST_IJLi6EEEENST_IJLi7EEEENST_IJLi8EEEENST_IJLi9EEEENST_IJLi10EEEENST_IJLi11ELi13ELi15ELi17EEEENST_IJLi12ELi14ELi16ELi18EEEENST_IJLi19EEEENST_IJLi20EEEENST_IJLi22EEEENST_IJLi21EEEEEEENS5_IJNST_IJLi1ELi2ELi3ELi4ELi5EEEES10_S11_S12_S13_S14_NST_IJLi11EEEENST_IJLi12ELi13EEEENST_IJLi14ELi15EEEENST_IJLi16ELi17EEEENST_IJLi18EEEES17_S18_S1A_S19_NST_IJLi23ELi24EEEENST_IJLi25EEEEEEENST_IJLi23ELi25ELi24EEEElEENSB_INS5_IJSR_SP_SP_SR_SG_EEENS5_IJSU_SV_SW_SY_SX_EEENS5_IJNST_IJLi1ELi2EEEESX_SY_NST_IJLi5ELi6EEEES11_EEENST_IJLi5ELi7ELi6EEEElEENSB_INS5_IJSK_SP_SP_EEENS5_IJSU_SV_SW_EEENS5_IJS1P_SX_SY_EEENST_IJLi3ELi4EEEElEELi128ELi128ELi16ELi1ELi4ELi4ELi1ENST_IJLi8ELi2EEEES1Z_NST_IJLi8ELi1ELi1ELi1EEEENST_IJLi2ELi1ELi128ELi1EEEENST_IJLi1ELi2ELi0ELi3EEEES22_NST_IJLi4ELi1ELi1ELi1EEEES22_NST_IJLi1ELi1ELi1ELi1EEEES20_S21_S22_S22_S23_S22_S24_NST_IJLi0ELi1ELi2ELi3ELi4ELi5EEEELi5ELi4EEEfNS5_IJPKfEEEfS8_S8_S9_NSB_INS5_IJSE_SG_SI_SI_SI_SG_SG_SK_SK_SK_SG_SN_SN_SP_SP_SR_SG_SG_NSQ_INS5_IJiNS_17integral_constantIiLi128EEEEEELb0EEENSF_INS2A_IiLi1EEEEEEEENS5_IJSU_SV_SW_SX_SY_SZ_S10_S11_S12_S13_S14_S15_S16_S17_S18_S19_S1A_NST_IJLi23EEEES1J_NST_IJLi24EEEEEEENS5_IJS1C_S10_S11_S12_S13_S14_S1D_S1E_S1F_S1G_S1H_S17_S18_S1A_S19_S1I_S1J_NST_IJLi26EEEENST_IJLi27ELi28EEEENST_IJLi29EEEEEEENST_IJLi26ELi27ELi28ELi29EEEElEENSB_INS5_IJSR_SP_SP_SR_SG_SG_S2D_S2F_EEENS5_IJSU_SV_SW_SY_SX_SZ_S11_S10_EEENS5_IJS1P_SX_SY_S1Q_S11_S12_NST_IJLi9ELi10EEEES1D_EEENST_IJLi8ELi9ELi10ELi11EEEElEENS5_IJNSB_INS5_IJSK_SP_SP_NSQ_INS5_IJiNS2A_IiLi2EEENS2A_IiLi64EEEEEELb0EEES2Z_EEENS5_IJSU_SV_SW_SX_SY_EEENS5_IJS1P_SX_SY_NST_IJLi5ELi6ELi7EEEENST_IJLi8ELi9ELi10EEEEEEENST_IJLi5ELi6ELi7ELi8ELi9ELi10EEEElEEEEES36_NS_31BlockToCTileMap_M00_N00_M01_N01ILi128ELi128ES1Y_Lb0EEENS1_30ComputePtrOffsetOfStridedBatchILi1ELi1ELi1EvEELb1ELb0EEEvPKT0_S3E_T1_PT2_T3_T4_T5_iT6_T7_T8_T9_T10_T11_, .Lfunc_end16-_ZN2ck16tensor_operation6device12_GLOBAL__N_137kernel_grouped_conv_fwd_dl_multiple_dINS_32GridwiseGemmDlMultipleD_km_kn_mnILi256EffNS_5TupleIJfEEEfNS0_12element_wise11PassThroughES8_NS7_7AddReluELNS_25InMemoryDataOperationEnumE0ENS_16TensorDescriptorINS5_IJNS_5EmbedINS5_IJiiiiiEEESD_Lb0EEENS_11PassThroughIiEENS_3PadIiiiLb0EEESI_SI_SG_SG_NSC_INS5_IJiiEEESJ_Lb0EEESK_SK_SG_NS_23Merge_v2_magic_divisionINS5_IJiiiiEEEEESN_NS_8RightPadIiiLb0EEESP_NS_7UnMergeISJ_Lb0EEESG_EEENS5_IJNS_8SequenceIJLi0EEEENST_IJLi1EEEENST_IJLi2EEEENST_IJLi3EEEENST_IJLi4EEEENST_IJLi5EEEENST_IJLi6EEEENST_IJLi7EEEENST_IJLi8EEEENST_IJLi9EEEENST_IJLi10EEEENST_IJLi11ELi13ELi15ELi17EEEENST_IJLi12ELi14ELi16ELi18EEEENST_IJLi19EEEENST_IJLi20EEEENST_IJLi22EEEENST_IJLi21EEEEEEENS5_IJNST_IJLi1ELi2ELi3ELi4ELi5EEEES10_S11_S12_S13_S14_NST_IJLi11EEEENST_IJLi12ELi13EEEENST_IJLi14ELi15EEEENST_IJLi16ELi17EEEENST_IJLi18EEEES17_S18_S1A_S19_NST_IJLi23ELi24EEEENST_IJLi25EEEEEEENST_IJLi23ELi25ELi24EEEElEENSB_INS5_IJSR_SP_SP_SR_SG_EEENS5_IJSU_SV_SW_SY_SX_EEENS5_IJNST_IJLi1ELi2EEEESX_SY_NST_IJLi5ELi6EEEES11_EEENST_IJLi5ELi7ELi6EEEElEENSB_INS5_IJSK_SP_SP_EEENS5_IJSU_SV_SW_EEENS5_IJS1P_SX_SY_EEENST_IJLi3ELi4EEEElEELi128ELi128ELi16ELi1ELi4ELi4ELi1ENST_IJLi8ELi2EEEES1Z_NST_IJLi8ELi1ELi1ELi1EEEENST_IJLi2ELi1ELi128ELi1EEEENST_IJLi1ELi2ELi0ELi3EEEES22_NST_IJLi4ELi1ELi1ELi1EEEES22_NST_IJLi1ELi1ELi1ELi1EEEES20_S21_S22_S22_S23_S22_S24_NST_IJLi0ELi1ELi2ELi3ELi4ELi5EEEELi5ELi4EEEfNS5_IJPKfEEEfS8_S8_S9_NSB_INS5_IJSE_SG_SI_SI_SI_SG_SG_SK_SK_SK_SG_SN_SN_SP_SP_SR_SG_SG_NSQ_INS5_IJiNS_17integral_constantIiLi128EEEEEELb0EEENSF_INS2A_IiLi1EEEEEEEENS5_IJSU_SV_SW_SX_SY_SZ_S10_S11_S12_S13_S14_S15_S16_S17_S18_S19_S1A_NST_IJLi23EEEES1J_NST_IJLi24EEEEEEENS5_IJS1C_S10_S11_S12_S13_S14_S1D_S1E_S1F_S1G_S1H_S17_S18_S1A_S19_S1I_S1J_NST_IJLi26EEEENST_IJLi27ELi28EEEENST_IJLi29EEEEEEENST_IJLi26ELi27ELi28ELi29EEEElEENSB_INS5_IJSR_SP_SP_SR_SG_SG_S2D_S2F_EEENS5_IJSU_SV_SW_SY_SX_SZ_S11_S10_EEENS5_IJS1P_SX_SY_S1Q_S11_S12_NST_IJLi9ELi10EEEES1D_EEENST_IJLi8ELi9ELi10ELi11EEEElEENS5_IJNSB_INS5_IJSK_SP_SP_NSQ_INS5_IJiNS2A_IiLi2EEENS2A_IiLi64EEEEEELb0EEES2Z_EEENS5_IJSU_SV_SW_SX_SY_EEENS5_IJS1P_SX_SY_NST_IJLi5ELi6ELi7EEEENST_IJLi8ELi9ELi10EEEEEEENST_IJLi5ELi6ELi7ELi8ELi9ELi10EEEElEEEEES36_NS_31BlockToCTileMap_M00_N00_M01_N01ILi128ELi128ES1Y_Lb0EEENS1_30ComputePtrOffsetOfStridedBatchILi1ELi1ELi1EvEELb1ELb0EEEvPKT0_S3E_T1_PT2_T3_T4_T5_iT6_T7_T8_T9_T10_T11_
                                        ; -- End function
	.section	.AMDGPU.csdata,"",@progbits
; Kernel info:
; codeLenInByte = 2892
; NumSgprs: 98
; NumVgprs: 128
; NumAgprs: 18
; TotalNumVgprs: 146
; ScratchSize: 704
; MemoryBound: 0
; FloatMode: 240
; IeeeMode: 1
; LDSByteSize: 32768 bytes/workgroup (compile time only)
; SGPRBlocks: 12
; VGPRBlocks: 18
; NumSGPRsForWavesPerEU: 98
; NumVGPRsForWavesPerEU: 146
; AccumOffset: 128
; Occupancy: 2
; WaveLimiterHint : 1
; COMPUTE_PGM_RSRC2:SCRATCH_EN: 1
; COMPUTE_PGM_RSRC2:USER_SGPR: 8
; COMPUTE_PGM_RSRC2:TRAP_HANDLER: 0
; COMPUTE_PGM_RSRC2:TGID_X_EN: 1
; COMPUTE_PGM_RSRC2:TGID_Y_EN: 0
; COMPUTE_PGM_RSRC2:TGID_Z_EN: 0
; COMPUTE_PGM_RSRC2:TIDIG_COMP_CNT: 0
; COMPUTE_PGM_RSRC3_GFX90A:ACCUM_OFFSET: 31
; COMPUTE_PGM_RSRC3_GFX90A:TG_SPLIT: 0
	.section	.text._ZN2ck16tensor_operation6device12_GLOBAL__N_137kernel_grouped_conv_fwd_dl_multiple_dINS_32GridwiseGemmDlMultipleD_km_kn_mnILi256EffNS_5TupleIJfEEEfNS0_12element_wise11PassThroughES8_NS7_7AddReluELNS_25InMemoryDataOperationEnumE0ENS_16TensorDescriptorINS5_IJNS_5EmbedINS5_IJiiiiiEEESD_Lb0EEENS_11PassThroughIiEENS_3PadIiiiLb0EEESI_SI_SG_SG_NSC_INS5_IJiiEEESJ_Lb0EEESK_SK_SG_NS_23Merge_v2_magic_divisionINS5_IJiiiiEEEEESN_NS_8RightPadIiiLb0EEESP_NS_7UnMergeISJ_Lb0EEESG_EEENS5_IJNS_8SequenceIJLi0EEEENST_IJLi1EEEENST_IJLi2EEEENST_IJLi3EEEENST_IJLi4EEEENST_IJLi5EEEENST_IJLi6EEEENST_IJLi7EEEENST_IJLi8EEEENST_IJLi9EEEENST_IJLi10EEEENST_IJLi11ELi13ELi15ELi17EEEENST_IJLi12ELi14ELi16ELi18EEEENST_IJLi19EEEENST_IJLi20EEEENST_IJLi22EEEENST_IJLi21EEEEEEENS5_IJNST_IJLi1ELi2ELi3ELi4ELi5EEEES10_S11_S12_S13_S14_NST_IJLi11EEEENST_IJLi12ELi13EEEENST_IJLi14ELi15EEEENST_IJLi16ELi17EEEENST_IJLi18EEEES17_S18_S1A_S19_NST_IJLi23ELi24EEEENST_IJLi25EEEEEEENST_IJLi23ELi25ELi24EEEElEENSB_INS5_IJSR_SP_SP_SR_SG_EEENS5_IJSU_SV_SW_SY_SX_EEENS5_IJNST_IJLi1ELi2EEEESX_SY_NST_IJLi5ELi6EEEES11_EEENST_IJLi5ELi7ELi6EEEElEENSB_INS5_IJSK_SP_SP_EEENS5_IJSU_SV_SW_EEENS5_IJS1P_SX_SY_EEENST_IJLi3ELi4EEEElEELi128ELi128ELi16ELi1ELi4ELi4ELi1ENST_IJLi8ELi2EEEES1Z_NST_IJLi8ELi1ELi1ELi1EEEENST_IJLi2ELi1ELi128ELi1EEEENST_IJLi1ELi2ELi0ELi3EEEES22_NST_IJLi4ELi1ELi1ELi1EEEES22_NST_IJLi1ELi1ELi1ELi1EEEES20_S21_S22_S22_S23_S22_S24_NST_IJLi0ELi1ELi2ELi3ELi4ELi5EEEELi5ELi4EEEfNS5_IJPKfEEEfS8_S8_S9_NSB_INS5_IJSE_SG_SI_SI_SI_SG_SG_SK_SK_SK_SG_SN_SN_SP_SP_SR_SG_SG_NSQ_INS5_IJiNS_17integral_constantIiLi128EEEEEELb0EEENSF_INS2A_IiLi1EEEEEEEENS5_IJSU_SV_SW_SX_SY_SZ_S10_S11_S12_S13_S14_S15_S16_S17_S18_S19_S1A_NST_IJLi23EEEES1J_NST_IJLi24EEEEEEENS5_IJS1C_S10_S11_S12_S13_S14_S1D_S1E_S1F_S1G_S1H_S17_S18_S1A_S19_S1I_S1J_NST_IJLi26EEEENST_IJLi27ELi28EEEENST_IJLi29EEEEEEENST_IJLi26ELi27ELi28ELi29EEEElEENSB_INS5_IJSR_SP_SP_SR_SG_SG_S2D_S2F_EEENS5_IJSU_SV_SW_SY_SX_SZ_S11_S10_EEENS5_IJS1P_SX_SY_S1Q_S11_S12_NST_IJLi9ELi10EEEES1D_EEENST_IJLi8ELi9ELi10ELi11EEEElEENS5_IJNSB_INS5_IJSK_SP_SP_NSQ_INS5_IJiNS2A_IiLi2EEENS2A_IiLi64EEEEEELb0EEES2Z_EEENS5_IJSU_SV_SW_SX_SY_EEENS5_IJS1P_SX_SY_NST_IJLi5ELi6ELi7EEEENST_IJLi8ELi9ELi10EEEEEEENST_IJLi5ELi6ELi7ELi8ELi9ELi10EEEElEEEEES36_NS_31BlockToCTileMap_M00_N00_M01_N01ILi128ELi128ES1Y_Lb0EEENS1_30ComputePtrOffsetOfStridedBatchILi1ELi1ELi1EvEELb0ELb1EEEvPKT0_S3E_T1_PT2_T3_T4_T5_iT6_T7_T8_T9_T10_T11_,"axG",@progbits,_ZN2ck16tensor_operation6device12_GLOBAL__N_137kernel_grouped_conv_fwd_dl_multiple_dINS_32GridwiseGemmDlMultipleD_km_kn_mnILi256EffNS_5TupleIJfEEEfNS0_12element_wise11PassThroughES8_NS7_7AddReluELNS_25InMemoryDataOperationEnumE0ENS_16TensorDescriptorINS5_IJNS_5EmbedINS5_IJiiiiiEEESD_Lb0EEENS_11PassThroughIiEENS_3PadIiiiLb0EEESI_SI_SG_SG_NSC_INS5_IJiiEEESJ_Lb0EEESK_SK_SG_NS_23Merge_v2_magic_divisionINS5_IJiiiiEEEEESN_NS_8RightPadIiiLb0EEESP_NS_7UnMergeISJ_Lb0EEESG_EEENS5_IJNS_8SequenceIJLi0EEEENST_IJLi1EEEENST_IJLi2EEEENST_IJLi3EEEENST_IJLi4EEEENST_IJLi5EEEENST_IJLi6EEEENST_IJLi7EEEENST_IJLi8EEEENST_IJLi9EEEENST_IJLi10EEEENST_IJLi11ELi13ELi15ELi17EEEENST_IJLi12ELi14ELi16ELi18EEEENST_IJLi19EEEENST_IJLi20EEEENST_IJLi22EEEENST_IJLi21EEEEEEENS5_IJNST_IJLi1ELi2ELi3ELi4ELi5EEEES10_S11_S12_S13_S14_NST_IJLi11EEEENST_IJLi12ELi13EEEENST_IJLi14ELi15EEEENST_IJLi16ELi17EEEENST_IJLi18EEEES17_S18_S1A_S19_NST_IJLi23ELi24EEEENST_IJLi25EEEEEEENST_IJLi23ELi25ELi24EEEElEENSB_INS5_IJSR_SP_SP_SR_SG_EEENS5_IJSU_SV_SW_SY_SX_EEENS5_IJNST_IJLi1ELi2EEEESX_SY_NST_IJLi5ELi6EEEES11_EEENST_IJLi5ELi7ELi6EEEElEENSB_INS5_IJSK_SP_SP_EEENS5_IJSU_SV_SW_EEENS5_IJS1P_SX_SY_EEENST_IJLi3ELi4EEEElEELi128ELi128ELi16ELi1ELi4ELi4ELi1ENST_IJLi8ELi2EEEES1Z_NST_IJLi8ELi1ELi1ELi1EEEENST_IJLi2ELi1ELi128ELi1EEEENST_IJLi1ELi2ELi0ELi3EEEES22_NST_IJLi4ELi1ELi1ELi1EEEES22_NST_IJLi1ELi1ELi1ELi1EEEES20_S21_S22_S22_S23_S22_S24_NST_IJLi0ELi1ELi2ELi3ELi4ELi5EEEELi5ELi4EEEfNS5_IJPKfEEEfS8_S8_S9_NSB_INS5_IJSE_SG_SI_SI_SI_SG_SG_SK_SK_SK_SG_SN_SN_SP_SP_SR_SG_SG_NSQ_INS5_IJiNS_17integral_constantIiLi128EEEEEELb0EEENSF_INS2A_IiLi1EEEEEEEENS5_IJSU_SV_SW_SX_SY_SZ_S10_S11_S12_S13_S14_S15_S16_S17_S18_S19_S1A_NST_IJLi23EEEES1J_NST_IJLi24EEEEEEENS5_IJS1C_S10_S11_S12_S13_S14_S1D_S1E_S1F_S1G_S1H_S17_S18_S1A_S19_S1I_S1J_NST_IJLi26EEEENST_IJLi27ELi28EEEENST_IJLi29EEEEEEENST_IJLi26ELi27ELi28ELi29EEEElEENSB_INS5_IJSR_SP_SP_SR_SG_SG_S2D_S2F_EEENS5_IJSU_SV_SW_SY_SX_SZ_S11_S10_EEENS5_IJS1P_SX_SY_S1Q_S11_S12_NST_IJLi9ELi10EEEES1D_EEENST_IJLi8ELi9ELi10ELi11EEEElEENS5_IJNSB_INS5_IJSK_SP_SP_NSQ_INS5_IJiNS2A_IiLi2EEENS2A_IiLi64EEEEEELb0EEES2Z_EEENS5_IJSU_SV_SW_SX_SY_EEENS5_IJS1P_SX_SY_NST_IJLi5ELi6ELi7EEEENST_IJLi8ELi9ELi10EEEEEEENST_IJLi5ELi6ELi7ELi8ELi9ELi10EEEElEEEEES36_NS_31BlockToCTileMap_M00_N00_M01_N01ILi128ELi128ES1Y_Lb0EEENS1_30ComputePtrOffsetOfStridedBatchILi1ELi1ELi1EvEELb0ELb1EEEvPKT0_S3E_T1_PT2_T3_T4_T5_iT6_T7_T8_T9_T10_T11_,comdat
	.globl	_ZN2ck16tensor_operation6device12_GLOBAL__N_137kernel_grouped_conv_fwd_dl_multiple_dINS_32GridwiseGemmDlMultipleD_km_kn_mnILi256EffNS_5TupleIJfEEEfNS0_12element_wise11PassThroughES8_NS7_7AddReluELNS_25InMemoryDataOperationEnumE0ENS_16TensorDescriptorINS5_IJNS_5EmbedINS5_IJiiiiiEEESD_Lb0EEENS_11PassThroughIiEENS_3PadIiiiLb0EEESI_SI_SG_SG_NSC_INS5_IJiiEEESJ_Lb0EEESK_SK_SG_NS_23Merge_v2_magic_divisionINS5_IJiiiiEEEEESN_NS_8RightPadIiiLb0EEESP_NS_7UnMergeISJ_Lb0EEESG_EEENS5_IJNS_8SequenceIJLi0EEEENST_IJLi1EEEENST_IJLi2EEEENST_IJLi3EEEENST_IJLi4EEEENST_IJLi5EEEENST_IJLi6EEEENST_IJLi7EEEENST_IJLi8EEEENST_IJLi9EEEENST_IJLi10EEEENST_IJLi11ELi13ELi15ELi17EEEENST_IJLi12ELi14ELi16ELi18EEEENST_IJLi19EEEENST_IJLi20EEEENST_IJLi22EEEENST_IJLi21EEEEEEENS5_IJNST_IJLi1ELi2ELi3ELi4ELi5EEEES10_S11_S12_S13_S14_NST_IJLi11EEEENST_IJLi12ELi13EEEENST_IJLi14ELi15EEEENST_IJLi16ELi17EEEENST_IJLi18EEEES17_S18_S1A_S19_NST_IJLi23ELi24EEEENST_IJLi25EEEEEEENST_IJLi23ELi25ELi24EEEElEENSB_INS5_IJSR_SP_SP_SR_SG_EEENS5_IJSU_SV_SW_SY_SX_EEENS5_IJNST_IJLi1ELi2EEEESX_SY_NST_IJLi5ELi6EEEES11_EEENST_IJLi5ELi7ELi6EEEElEENSB_INS5_IJSK_SP_SP_EEENS5_IJSU_SV_SW_EEENS5_IJS1P_SX_SY_EEENST_IJLi3ELi4EEEElEELi128ELi128ELi16ELi1ELi4ELi4ELi1ENST_IJLi8ELi2EEEES1Z_NST_IJLi8ELi1ELi1ELi1EEEENST_IJLi2ELi1ELi128ELi1EEEENST_IJLi1ELi2ELi0ELi3EEEES22_NST_IJLi4ELi1ELi1ELi1EEEES22_NST_IJLi1ELi1ELi1ELi1EEEES20_S21_S22_S22_S23_S22_S24_NST_IJLi0ELi1ELi2ELi3ELi4ELi5EEEELi5ELi4EEEfNS5_IJPKfEEEfS8_S8_S9_NSB_INS5_IJSE_SG_SI_SI_SI_SG_SG_SK_SK_SK_SG_SN_SN_SP_SP_SR_SG_SG_NSQ_INS5_IJiNS_17integral_constantIiLi128EEEEEELb0EEENSF_INS2A_IiLi1EEEEEEEENS5_IJSU_SV_SW_SX_SY_SZ_S10_S11_S12_S13_S14_S15_S16_S17_S18_S19_S1A_NST_IJLi23EEEES1J_NST_IJLi24EEEEEEENS5_IJS1C_S10_S11_S12_S13_S14_S1D_S1E_S1F_S1G_S1H_S17_S18_S1A_S19_S1I_S1J_NST_IJLi26EEEENST_IJLi27ELi28EEEENST_IJLi29EEEEEEENST_IJLi26ELi27ELi28ELi29EEEElEENSB_INS5_IJSR_SP_SP_SR_SG_SG_S2D_S2F_EEENS5_IJSU_SV_SW_SY_SX_SZ_S11_S10_EEENS5_IJS1P_SX_SY_S1Q_S11_S12_NST_IJLi9ELi10EEEES1D_EEENST_IJLi8ELi9ELi10ELi11EEEElEENS5_IJNSB_INS5_IJSK_SP_SP_NSQ_INS5_IJiNS2A_IiLi2EEENS2A_IiLi64EEEEEELb0EEES2Z_EEENS5_IJSU_SV_SW_SX_SY_EEENS5_IJS1P_SX_SY_NST_IJLi5ELi6ELi7EEEENST_IJLi8ELi9ELi10EEEEEEENST_IJLi5ELi6ELi7ELi8ELi9ELi10EEEElEEEEES36_NS_31BlockToCTileMap_M00_N00_M01_N01ILi128ELi128ES1Y_Lb0EEENS1_30ComputePtrOffsetOfStridedBatchILi1ELi1ELi1EvEELb0ELb1EEEvPKT0_S3E_T1_PT2_T3_T4_T5_iT6_T7_T8_T9_T10_T11_ ; -- Begin function _ZN2ck16tensor_operation6device12_GLOBAL__N_137kernel_grouped_conv_fwd_dl_multiple_dINS_32GridwiseGemmDlMultipleD_km_kn_mnILi256EffNS_5TupleIJfEEEfNS0_12element_wise11PassThroughES8_NS7_7AddReluELNS_25InMemoryDataOperationEnumE0ENS_16TensorDescriptorINS5_IJNS_5EmbedINS5_IJiiiiiEEESD_Lb0EEENS_11PassThroughIiEENS_3PadIiiiLb0EEESI_SI_SG_SG_NSC_INS5_IJiiEEESJ_Lb0EEESK_SK_SG_NS_23Merge_v2_magic_divisionINS5_IJiiiiEEEEESN_NS_8RightPadIiiLb0EEESP_NS_7UnMergeISJ_Lb0EEESG_EEENS5_IJNS_8SequenceIJLi0EEEENST_IJLi1EEEENST_IJLi2EEEENST_IJLi3EEEENST_IJLi4EEEENST_IJLi5EEEENST_IJLi6EEEENST_IJLi7EEEENST_IJLi8EEEENST_IJLi9EEEENST_IJLi10EEEENST_IJLi11ELi13ELi15ELi17EEEENST_IJLi12ELi14ELi16ELi18EEEENST_IJLi19EEEENST_IJLi20EEEENST_IJLi22EEEENST_IJLi21EEEEEEENS5_IJNST_IJLi1ELi2ELi3ELi4ELi5EEEES10_S11_S12_S13_S14_NST_IJLi11EEEENST_IJLi12ELi13EEEENST_IJLi14ELi15EEEENST_IJLi16ELi17EEEENST_IJLi18EEEES17_S18_S1A_S19_NST_IJLi23ELi24EEEENST_IJLi25EEEEEEENST_IJLi23ELi25ELi24EEEElEENSB_INS5_IJSR_SP_SP_SR_SG_EEENS5_IJSU_SV_SW_SY_SX_EEENS5_IJNST_IJLi1ELi2EEEESX_SY_NST_IJLi5ELi6EEEES11_EEENST_IJLi5ELi7ELi6EEEElEENSB_INS5_IJSK_SP_SP_EEENS5_IJSU_SV_SW_EEENS5_IJS1P_SX_SY_EEENST_IJLi3ELi4EEEElEELi128ELi128ELi16ELi1ELi4ELi4ELi1ENST_IJLi8ELi2EEEES1Z_NST_IJLi8ELi1ELi1ELi1EEEENST_IJLi2ELi1ELi128ELi1EEEENST_IJLi1ELi2ELi0ELi3EEEES22_NST_IJLi4ELi1ELi1ELi1EEEES22_NST_IJLi1ELi1ELi1ELi1EEEES20_S21_S22_S22_S23_S22_S24_NST_IJLi0ELi1ELi2ELi3ELi4ELi5EEEELi5ELi4EEEfNS5_IJPKfEEEfS8_S8_S9_NSB_INS5_IJSE_SG_SI_SI_SI_SG_SG_SK_SK_SK_SG_SN_SN_SP_SP_SR_SG_SG_NSQ_INS5_IJiNS_17integral_constantIiLi128EEEEEELb0EEENSF_INS2A_IiLi1EEEEEEEENS5_IJSU_SV_SW_SX_SY_SZ_S10_S11_S12_S13_S14_S15_S16_S17_S18_S19_S1A_NST_IJLi23EEEES1J_NST_IJLi24EEEEEEENS5_IJS1C_S10_S11_S12_S13_S14_S1D_S1E_S1F_S1G_S1H_S17_S18_S1A_S19_S1I_S1J_NST_IJLi26EEEENST_IJLi27ELi28EEEENST_IJLi29EEEEEEENST_IJLi26ELi27ELi28ELi29EEEElEENSB_INS5_IJSR_SP_SP_SR_SG_SG_S2D_S2F_EEENS5_IJSU_SV_SW_SY_SX_SZ_S11_S10_EEENS5_IJS1P_SX_SY_S1Q_S11_S12_NST_IJLi9ELi10EEEES1D_EEENST_IJLi8ELi9ELi10ELi11EEEElEENS5_IJNSB_INS5_IJSK_SP_SP_NSQ_INS5_IJiNS2A_IiLi2EEENS2A_IiLi64EEEEEELb0EEES2Z_EEENS5_IJSU_SV_SW_SX_SY_EEENS5_IJS1P_SX_SY_NST_IJLi5ELi6ELi7EEEENST_IJLi8ELi9ELi10EEEEEEENST_IJLi5ELi6ELi7ELi8ELi9ELi10EEEElEEEEES36_NS_31BlockToCTileMap_M00_N00_M01_N01ILi128ELi128ES1Y_Lb0EEENS1_30ComputePtrOffsetOfStridedBatchILi1ELi1ELi1EvEELb0ELb1EEEvPKT0_S3E_T1_PT2_T3_T4_T5_iT6_T7_T8_T9_T10_T11_
	.p2align	8
	.type	_ZN2ck16tensor_operation6device12_GLOBAL__N_137kernel_grouped_conv_fwd_dl_multiple_dINS_32GridwiseGemmDlMultipleD_km_kn_mnILi256EffNS_5TupleIJfEEEfNS0_12element_wise11PassThroughES8_NS7_7AddReluELNS_25InMemoryDataOperationEnumE0ENS_16TensorDescriptorINS5_IJNS_5EmbedINS5_IJiiiiiEEESD_Lb0EEENS_11PassThroughIiEENS_3PadIiiiLb0EEESI_SI_SG_SG_NSC_INS5_IJiiEEESJ_Lb0EEESK_SK_SG_NS_23Merge_v2_magic_divisionINS5_IJiiiiEEEEESN_NS_8RightPadIiiLb0EEESP_NS_7UnMergeISJ_Lb0EEESG_EEENS5_IJNS_8SequenceIJLi0EEEENST_IJLi1EEEENST_IJLi2EEEENST_IJLi3EEEENST_IJLi4EEEENST_IJLi5EEEENST_IJLi6EEEENST_IJLi7EEEENST_IJLi8EEEENST_IJLi9EEEENST_IJLi10EEEENST_IJLi11ELi13ELi15ELi17EEEENST_IJLi12ELi14ELi16ELi18EEEENST_IJLi19EEEENST_IJLi20EEEENST_IJLi22EEEENST_IJLi21EEEEEEENS5_IJNST_IJLi1ELi2ELi3ELi4ELi5EEEES10_S11_S12_S13_S14_NST_IJLi11EEEENST_IJLi12ELi13EEEENST_IJLi14ELi15EEEENST_IJLi16ELi17EEEENST_IJLi18EEEES17_S18_S1A_S19_NST_IJLi23ELi24EEEENST_IJLi25EEEEEEENST_IJLi23ELi25ELi24EEEElEENSB_INS5_IJSR_SP_SP_SR_SG_EEENS5_IJSU_SV_SW_SY_SX_EEENS5_IJNST_IJLi1ELi2EEEESX_SY_NST_IJLi5ELi6EEEES11_EEENST_IJLi5ELi7ELi6EEEElEENSB_INS5_IJSK_SP_SP_EEENS5_IJSU_SV_SW_EEENS5_IJS1P_SX_SY_EEENST_IJLi3ELi4EEEElEELi128ELi128ELi16ELi1ELi4ELi4ELi1ENST_IJLi8ELi2EEEES1Z_NST_IJLi8ELi1ELi1ELi1EEEENST_IJLi2ELi1ELi128ELi1EEEENST_IJLi1ELi2ELi0ELi3EEEES22_NST_IJLi4ELi1ELi1ELi1EEEES22_NST_IJLi1ELi1ELi1ELi1EEEES20_S21_S22_S22_S23_S22_S24_NST_IJLi0ELi1ELi2ELi3ELi4ELi5EEEELi5ELi4EEEfNS5_IJPKfEEEfS8_S8_S9_NSB_INS5_IJSE_SG_SI_SI_SI_SG_SG_SK_SK_SK_SG_SN_SN_SP_SP_SR_SG_SG_NSQ_INS5_IJiNS_17integral_constantIiLi128EEEEEELb0EEENSF_INS2A_IiLi1EEEEEEEENS5_IJSU_SV_SW_SX_SY_SZ_S10_S11_S12_S13_S14_S15_S16_S17_S18_S19_S1A_NST_IJLi23EEEES1J_NST_IJLi24EEEEEEENS5_IJS1C_S10_S11_S12_S13_S14_S1D_S1E_S1F_S1G_S1H_S17_S18_S1A_S19_S1I_S1J_NST_IJLi26EEEENST_IJLi27ELi28EEEENST_IJLi29EEEEEEENST_IJLi26ELi27ELi28ELi29EEEElEENSB_INS5_IJSR_SP_SP_SR_SG_SG_S2D_S2F_EEENS5_IJSU_SV_SW_SY_SX_SZ_S11_S10_EEENS5_IJS1P_SX_SY_S1Q_S11_S12_NST_IJLi9ELi10EEEES1D_EEENST_IJLi8ELi9ELi10ELi11EEEElEENS5_IJNSB_INS5_IJSK_SP_SP_NSQ_INS5_IJiNS2A_IiLi2EEENS2A_IiLi64EEEEEELb0EEES2Z_EEENS5_IJSU_SV_SW_SX_SY_EEENS5_IJS1P_SX_SY_NST_IJLi5ELi6ELi7EEEENST_IJLi8ELi9ELi10EEEEEEENST_IJLi5ELi6ELi7ELi8ELi9ELi10EEEElEEEEES36_NS_31BlockToCTileMap_M00_N00_M01_N01ILi128ELi128ES1Y_Lb0EEENS1_30ComputePtrOffsetOfStridedBatchILi1ELi1ELi1EvEELb0ELb1EEEvPKT0_S3E_T1_PT2_T3_T4_T5_iT6_T7_T8_T9_T10_T11_,@function
_ZN2ck16tensor_operation6device12_GLOBAL__N_137kernel_grouped_conv_fwd_dl_multiple_dINS_32GridwiseGemmDlMultipleD_km_kn_mnILi256EffNS_5TupleIJfEEEfNS0_12element_wise11PassThroughES8_NS7_7AddReluELNS_25InMemoryDataOperationEnumE0ENS_16TensorDescriptorINS5_IJNS_5EmbedINS5_IJiiiiiEEESD_Lb0EEENS_11PassThroughIiEENS_3PadIiiiLb0EEESI_SI_SG_SG_NSC_INS5_IJiiEEESJ_Lb0EEESK_SK_SG_NS_23Merge_v2_magic_divisionINS5_IJiiiiEEEEESN_NS_8RightPadIiiLb0EEESP_NS_7UnMergeISJ_Lb0EEESG_EEENS5_IJNS_8SequenceIJLi0EEEENST_IJLi1EEEENST_IJLi2EEEENST_IJLi3EEEENST_IJLi4EEEENST_IJLi5EEEENST_IJLi6EEEENST_IJLi7EEEENST_IJLi8EEEENST_IJLi9EEEENST_IJLi10EEEENST_IJLi11ELi13ELi15ELi17EEEENST_IJLi12ELi14ELi16ELi18EEEENST_IJLi19EEEENST_IJLi20EEEENST_IJLi22EEEENST_IJLi21EEEEEEENS5_IJNST_IJLi1ELi2ELi3ELi4ELi5EEEES10_S11_S12_S13_S14_NST_IJLi11EEEENST_IJLi12ELi13EEEENST_IJLi14ELi15EEEENST_IJLi16ELi17EEEENST_IJLi18EEEES17_S18_S1A_S19_NST_IJLi23ELi24EEEENST_IJLi25EEEEEEENST_IJLi23ELi25ELi24EEEElEENSB_INS5_IJSR_SP_SP_SR_SG_EEENS5_IJSU_SV_SW_SY_SX_EEENS5_IJNST_IJLi1ELi2EEEESX_SY_NST_IJLi5ELi6EEEES11_EEENST_IJLi5ELi7ELi6EEEElEENSB_INS5_IJSK_SP_SP_EEENS5_IJSU_SV_SW_EEENS5_IJS1P_SX_SY_EEENST_IJLi3ELi4EEEElEELi128ELi128ELi16ELi1ELi4ELi4ELi1ENST_IJLi8ELi2EEEES1Z_NST_IJLi8ELi1ELi1ELi1EEEENST_IJLi2ELi1ELi128ELi1EEEENST_IJLi1ELi2ELi0ELi3EEEES22_NST_IJLi4ELi1ELi1ELi1EEEES22_NST_IJLi1ELi1ELi1ELi1EEEES20_S21_S22_S22_S23_S22_S24_NST_IJLi0ELi1ELi2ELi3ELi4ELi5EEEELi5ELi4EEEfNS5_IJPKfEEEfS8_S8_S9_NSB_INS5_IJSE_SG_SI_SI_SI_SG_SG_SK_SK_SK_SG_SN_SN_SP_SP_SR_SG_SG_NSQ_INS5_IJiNS_17integral_constantIiLi128EEEEEELb0EEENSF_INS2A_IiLi1EEEEEEEENS5_IJSU_SV_SW_SX_SY_SZ_S10_S11_S12_S13_S14_S15_S16_S17_S18_S19_S1A_NST_IJLi23EEEES1J_NST_IJLi24EEEEEEENS5_IJS1C_S10_S11_S12_S13_S14_S1D_S1E_S1F_S1G_S1H_S17_S18_S1A_S19_S1I_S1J_NST_IJLi26EEEENST_IJLi27ELi28EEEENST_IJLi29EEEEEEENST_IJLi26ELi27ELi28ELi29EEEElEENSB_INS5_IJSR_SP_SP_SR_SG_SG_S2D_S2F_EEENS5_IJSU_SV_SW_SY_SX_SZ_S11_S10_EEENS5_IJS1P_SX_SY_S1Q_S11_S12_NST_IJLi9ELi10EEEES1D_EEENST_IJLi8ELi9ELi10ELi11EEEElEENS5_IJNSB_INS5_IJSK_SP_SP_NSQ_INS5_IJiNS2A_IiLi2EEENS2A_IiLi64EEEEEELb0EEES2Z_EEENS5_IJSU_SV_SW_SX_SY_EEENS5_IJS1P_SX_SY_NST_IJLi5ELi6ELi7EEEENST_IJLi8ELi9ELi10EEEEEEENST_IJLi5ELi6ELi7ELi8ELi9ELi10EEEElEEEEES36_NS_31BlockToCTileMap_M00_N00_M01_N01ILi128ELi128ES1Y_Lb0EEENS1_30ComputePtrOffsetOfStridedBatchILi1ELi1ELi1EvEELb0ELb1EEEvPKT0_S3E_T1_PT2_T3_T4_T5_iT6_T7_T8_T9_T10_T11_: ; @_ZN2ck16tensor_operation6device12_GLOBAL__N_137kernel_grouped_conv_fwd_dl_multiple_dINS_32GridwiseGemmDlMultipleD_km_kn_mnILi256EffNS_5TupleIJfEEEfNS0_12element_wise11PassThroughES8_NS7_7AddReluELNS_25InMemoryDataOperationEnumE0ENS_16TensorDescriptorINS5_IJNS_5EmbedINS5_IJiiiiiEEESD_Lb0EEENS_11PassThroughIiEENS_3PadIiiiLb0EEESI_SI_SG_SG_NSC_INS5_IJiiEEESJ_Lb0EEESK_SK_SG_NS_23Merge_v2_magic_divisionINS5_IJiiiiEEEEESN_NS_8RightPadIiiLb0EEESP_NS_7UnMergeISJ_Lb0EEESG_EEENS5_IJNS_8SequenceIJLi0EEEENST_IJLi1EEEENST_IJLi2EEEENST_IJLi3EEEENST_IJLi4EEEENST_IJLi5EEEENST_IJLi6EEEENST_IJLi7EEEENST_IJLi8EEEENST_IJLi9EEEENST_IJLi10EEEENST_IJLi11ELi13ELi15ELi17EEEENST_IJLi12ELi14ELi16ELi18EEEENST_IJLi19EEEENST_IJLi20EEEENST_IJLi22EEEENST_IJLi21EEEEEEENS5_IJNST_IJLi1ELi2ELi3ELi4ELi5EEEES10_S11_S12_S13_S14_NST_IJLi11EEEENST_IJLi12ELi13EEEENST_IJLi14ELi15EEEENST_IJLi16ELi17EEEENST_IJLi18EEEES17_S18_S1A_S19_NST_IJLi23ELi24EEEENST_IJLi25EEEEEEENST_IJLi23ELi25ELi24EEEElEENSB_INS5_IJSR_SP_SP_SR_SG_EEENS5_IJSU_SV_SW_SY_SX_EEENS5_IJNST_IJLi1ELi2EEEESX_SY_NST_IJLi5ELi6EEEES11_EEENST_IJLi5ELi7ELi6EEEElEENSB_INS5_IJSK_SP_SP_EEENS5_IJSU_SV_SW_EEENS5_IJS1P_SX_SY_EEENST_IJLi3ELi4EEEElEELi128ELi128ELi16ELi1ELi4ELi4ELi1ENST_IJLi8ELi2EEEES1Z_NST_IJLi8ELi1ELi1ELi1EEEENST_IJLi2ELi1ELi128ELi1EEEENST_IJLi1ELi2ELi0ELi3EEEES22_NST_IJLi4ELi1ELi1ELi1EEEES22_NST_IJLi1ELi1ELi1ELi1EEEES20_S21_S22_S22_S23_S22_S24_NST_IJLi0ELi1ELi2ELi3ELi4ELi5EEEELi5ELi4EEEfNS5_IJPKfEEEfS8_S8_S9_NSB_INS5_IJSE_SG_SI_SI_SI_SG_SG_SK_SK_SK_SG_SN_SN_SP_SP_SR_SG_SG_NSQ_INS5_IJiNS_17integral_constantIiLi128EEEEEELb0EEENSF_INS2A_IiLi1EEEEEEEENS5_IJSU_SV_SW_SX_SY_SZ_S10_S11_S12_S13_S14_S15_S16_S17_S18_S19_S1A_NST_IJLi23EEEES1J_NST_IJLi24EEEEEEENS5_IJS1C_S10_S11_S12_S13_S14_S1D_S1E_S1F_S1G_S1H_S17_S18_S1A_S19_S1I_S1J_NST_IJLi26EEEENST_IJLi27ELi28EEEENST_IJLi29EEEEEEENST_IJLi26ELi27ELi28ELi29EEEElEENSB_INS5_IJSR_SP_SP_SR_SG_SG_S2D_S2F_EEENS5_IJSU_SV_SW_SY_SX_SZ_S11_S10_EEENS5_IJS1P_SX_SY_S1Q_S11_S12_NST_IJLi9ELi10EEEES1D_EEENST_IJLi8ELi9ELi10ELi11EEEElEENS5_IJNSB_INS5_IJSK_SP_SP_NSQ_INS5_IJiNS2A_IiLi2EEENS2A_IiLi64EEEEEELb0EEES2Z_EEENS5_IJSU_SV_SW_SX_SY_EEENS5_IJS1P_SX_SY_NST_IJLi5ELi6ELi7EEEENST_IJLi8ELi9ELi10EEEEEEENST_IJLi5ELi6ELi7ELi8ELi9ELi10EEEElEEEEES36_NS_31BlockToCTileMap_M00_N00_M01_N01ILi128ELi128ES1Y_Lb0EEENS1_30ComputePtrOffsetOfStridedBatchILi1ELi1ELi1EvEELb0ELb1EEEvPKT0_S3E_T1_PT2_T3_T4_T5_iT6_T7_T8_T9_T10_T11_
; %bb.0:
	s_load_dword s7, s[4:5], 0x24
	s_load_dwordx8 s[44:51], s[4:5], 0x0
	s_load_dwordx4 s[60:63], s[4:5], 0x3c
	s_load_dword s84, s[4:5], 0x4c
	s_load_dwordx8 s[12:19], s[4:5], 0x54
	s_waitcnt lgkmcnt(0)
	s_abs_i32 s8, s7
	v_cvt_f32_u32_e32 v1, s8
	s_load_dwordx2 s[34:35], s[4:5], 0x88
	s_load_dwordx2 s[80:81], s[4:5], 0x98
	;; [unrolled: 1-line block ×3, first 2 shown]
	s_load_dword s9, s[4:5], 0x300
	s_load_dwordx8 s[36:43], s[4:5], 0xb8
	s_load_dwordx4 s[0:3], s[4:5], 0xd8
	s_load_dwordx8 s[20:27], s[4:5], 0xec
	v_lshlrev_b32_e32 v2, 3, v0
	v_rcp_iflag_f32_e32 v1, v1
	s_waitcnt lgkmcnt(0)
	s_xor_b32 s3, s9, s7
	s_abs_i32 s7, s9
	s_sub_i32 s9, 0, s8
	v_mul_f32_e32 v1, 0x4f7ffffe, v1
	v_cvt_u32_f32_e32 v1, v1
	s_ashr_i32 s3, s3, 31
	v_and_b32_e32 v25, 8, v2
	v_mov_b32_e32 v60, 0
	v_readfirstlane_b32 s10, v1
	s_mul_i32 s9, s9, s10
	s_mul_hi_u32 s9, s10, s9
	s_add_i32 s10, s10, s9
	s_mul_hi_u32 s9, s7, s10
	s_mul_i32 s10, s9, s8
	s_sub_i32 s7, s7, s10
	s_add_i32 s10, s9, 1
	s_sub_i32 s11, s7, s8
	s_cmp_ge_u32 s7, s8
	s_cselect_b32 s9, s10, s9
	s_cselect_b32 s7, s11, s7
	s_add_i32 s10, s9, 1
	s_cmp_ge_u32 s7, s8
	s_cselect_b32 s7, s10, s9
	s_xor_b32 s7, s7, s3
	s_sub_i32 s7, s7, s3
	s_abs_i32 s8, s7
	v_cvt_f32_u32_e32 v1, s8
	s_sub_i32 s10, 0, s8
	s_abs_i32 s9, s6
	s_xor_b32 s7, s6, s7
	v_rcp_iflag_f32_e32 v1, v1
	s_ashr_i32 s7, s7, 31
	s_load_dwordx4 s[64:67], s[4:5], 0x10c
	s_load_dword s3, s[4:5], 0x120
	s_load_dword s39, s[4:5], 0x12c
	s_waitcnt lgkmcnt(0)
	s_load_dword s67, s[4:5], 0x13c
	s_load_dwordx4 s[68:71], s[4:5], 0x298
	s_load_dwordx4 s[72:75], s[4:5], 0x2ac
	v_mul_f32_e32 v1, 0x4f7ffffe, v1
	v_cvt_u32_f32_e32 v1, v1
	s_load_dwordx4 s[76:79], s[4:5], 0x2c0
	s_load_dwordx8 s[52:59], s[4:5], 0x2d8
	s_waitcnt lgkmcnt(0)
	v_mul_lo_u32 v27, s67, v25
	v_mul_hi_u32 v2, v27, s26
	v_readfirstlane_b32 s11, v1
	s_mul_i32 s10, s10, s11
	s_mul_hi_u32 s10, s11, s10
	s_add_i32 s11, s11, s10
	s_mul_hi_u32 s10, s9, s11
	s_mul_i32 s11, s10, s8
	s_sub_i32 s9, s9, s11
	s_add_i32 s11, s10, 1
	s_sub_i32 s23, s9, s8
	s_cmp_ge_u32 s9, s8
	s_cselect_b32 s10, s11, s10
	s_cselect_b32 s9, s23, s9
	s_add_i32 s11, s10, 1
	s_cmp_ge_u32 s9, s8
	s_cselect_b32 s8, s11, s10
	s_xor_b32 s8, s8, s7
	s_sub_i32 s7, s8, s7
	s_ashr_i32 s23, s7, 31
	s_mul_i32 s27, s58, s23
	s_mul_hi_u32 s28, s58, s7
	s_add_i32 s27, s28, s27
	s_mul_i32 s28, s59, s7
	s_mul_i32 s8, s52, s23
	s_mul_i32 s10, s54, s23
	s_add_i32 s29, s27, s28
	s_mul_i32 s23, s56, s23
	s_mul_hi_u32 s27, s56, s7
	s_mul_hi_u32 s9, s52, s7
	;; [unrolled: 1-line block ×3, first 2 shown]
	s_add_i32 s23, s27, s23
	s_mul_i32 s27, s57, s7
	s_add_i32 s8, s9, s8
	s_mul_i32 s9, s53, s7
	;; [unrolled: 2-line block ×4, first 2 shown]
	s_add_i32 s9, s8, s9
	s_add_i32 s11, s10, s11
	s_lshl_b64 s[30:31], s[30:31], 2
	s_mul_i32 s8, s52, s7
	s_add_u32 s48, s48, s30
	s_addc_u32 s49, s49, s31
	s_lshl_b64 s[8:9], s[8:9], 2
	s_mul_i32 s10, s54, s7
	s_add_u32 s8, s44, s8
	s_addc_u32 s9, s45, s9
	;; [unrolled: 4-line block ×3, first 2 shown]
	s_lshl_b64 s[10:11], s[28:29], 2
	s_add_u32 s28, s50, s10
	s_mul_hi_u32 s10, s75, s6
	s_addc_u32 s29, s51, s11
	s_add_i32 s10, s6, s10
	s_lshr_b32 s10, s10, s79
	s_mul_i32 s11, s10, s71
	s_sub_i32 s6, s6, s11
	s_mul_hi_u32 s11, s10, s74
	s_add_i32 s11, s10, s11
	s_lshr_b32 s11, s11, s78
	s_mul_i32 s27, s11, s70
	s_sub_i32 s10, s10, s27
	s_mul_hi_u32 s27, s11, s73
	s_add_i32 s27, s11, s27
	s_lshr_b32 s27, s27, s77
	v_add_u32_e32 v2, v27, v2
	s_mul_i32 s33, s27, s69
	s_mul_hi_u32 s53, s27, s72
	v_lshrrev_b32_e32 v2, s66, v2
	s_load_dword s7, s[4:5], 0x160
	s_load_dword s46, s[4:5], 0x170
	;; [unrolled: 1-line block ×6, first 2 shown]
	s_load_dwordx2 s[30:31], s[4:5], 0x1d0
	s_load_dword s23, s[4:5], 0x1dc
	s_sub_i32 s11, s11, s33
	s_load_dword s33, s[4:5], 0x27c
	s_load_dword s52, s[4:5], 0x28c
	s_add_i32 s53, s27, s53
	v_mul_hi_u32 v4, v2, s25
	s_lshr_b32 s53, s53, s76
	v_add_u32_e32 v4, v2, v4
	s_mul_i32 s53, s53, s68
	v_lshrrev_b32_e32 v4, s65, v4
	s_sub_i32 s27, s27, s53
	v_mul_lo_u32 v5, v4, s21
	s_waitcnt lgkmcnt(0)
	s_mul_i32 s27, s27, s33
	v_mul_lo_u32 v3, v2, s22
	v_sub_u32_e32 v6, v2, v5
	v_mul_hi_u32 v2, v4, s24
	s_add_i32 s10, s10, s27
	v_add_u32_e32 v2, v4, v2
	v_lshrrev_b32_e32 v1, 1, v0
	s_lshl_b32 s27, s10, 7
	v_lshrrev_b32_e32 v7, s64, v2
	v_or_b32_e32 v26, s27, v1
	v_mul_lo_u32 v2, v7, s20
	v_sub_u32_e32 v8, v4, v2
	v_mul_hi_u32 v2, v26, s42
	v_add_u32_e32 v2, v26, v2
	v_lshrrev_b32_e32 v2, s2, v2
	v_mul_hi_u32 v5, v2, s41
	v_add_u32_e32 v5, v2, v5
	v_lshrrev_b32_e32 v5, s1, v5
	v_mul_lo_u32 v9, v5, s37
	v_mul_lo_u32 v4, v2, s38
	v_sub_u32_e32 v9, v2, v9
	v_mul_hi_u32 v2, v5, s40
	v_add_u32_e32 v2, v5, v2
	v_lshrrev_b32_e32 v10, s0, v2
	v_mul_lo_u32 v2, v10, s36
	v_sub_u32_e32 v3, v27, v3
	v_sub_u32_e32 v4, v26, v4
	;; [unrolled: 1-line block ×3, first 2 shown]
	v_mul_lo_u32 v2, v6, s82
	v_mad_u64_u32 v[18:19], s[0:1], v4, s83, v[2:3]
	v_mul_lo_u32 v2, v8, s80
	v_mad_u64_u32 v[20:21], s[0:1], v9, s81, v[2:3]
	;; [unrolled: 2-line block ×3, first 2 shown]
	v_subrev_u32_e32 v2, s19, v18
	v_subrev_u32_e32 v4, s16, v20
	v_mul_lo_u32 v9, v10, s60
	v_mul_lo_u32 v4, v4, s62
	;; [unrolled: 1-line block ×4, first 2 shown]
	v_add3_u32 v2, v2, v10, v4
	v_or_b32_e32 v4, 4, v25
	v_mul_lo_u32 v21, s67, v4
	v_mul_hi_u32 v4, v21, s26
	v_add_u32_e32 v4, v21, v4
	v_lshrrev_b32_e32 v10, s66, v4
	v_mul_lo_u32 v4, v10, s22
	v_sub_u32_e32 v23, v21, v4
	v_sub_u32_e32 v11, v23, v3
	v_mul_hi_u32 v3, v10, s25
	v_add_u32_e32 v3, v10, v3
	v_lshrrev_b32_e32 v12, s65, v3
	v_subrev_u32_e32 v5, s13, v22
	v_mul_lo_u32 v13, v12, s21
	v_mul_lo_u32 v5, v5, s61
	v_sub_u32_e32 v28, v10, v13
	v_mul_hi_u32 v10, v12, s24
	s_mul_i32 s11, s11, s52
	v_add3_u32 v9, v2, v9, v5
	v_add_u32_e32 v10, v12, v10
	s_add_i32 s6, s6, s11
	s_lshl_b32 s10, s7, 2
	s_mov_b32 s11, 0x20000
	v_lshlrev_b32_e32 v2, 2, v9
	v_lshrrev_b32_e32 v29, s64, v10
	buffer_load_dwordx4 v[2:5], v2, s[8:11], 0 offen
	v_mul_lo_u32 v10, v29, s20
	v_sub_u32_e32 v6, v28, v6
	v_sub_u32_e32 v30, v12, v10
	;; [unrolled: 1-line block ×4, first 2 shown]
	v_mul_lo_u32 v31, v6, s82
	v_mul_lo_u32 v33, v7, s34
	;; [unrolled: 1-line block ×7, first 2 shown]
	v_add3_u32 v6, v8, v10, v6
	s_lshl_b32 s33, s6, 7
	v_add3_u32 v34, v6, v7, v9
	v_or_b32_e32 v19, s33, v1
	v_lshlrev_b32_e32 v6, 2, v34
	buffer_load_dwordx4 v[6:9], v6, s[8:11], 0 offen
	v_mul_lo_u32 v24, s50, v25
	v_mad_u64_u32 v[14:15], s[0:1], v19, s46, v[24:25]
	s_lshl_b32 s46, s47, 2
	s_mov_b32 s47, s11
	v_lshlrev_b32_e32 v10, 2, v14
	s_lshl_b32 s35, s50, 2
	buffer_load_dwordx4 v[10:13], v10, s[44:47], 0 offen
	v_add_u32_e32 v35, s35, v14
	v_lshlrev_b32_e32 v14, 2, v35
	buffer_load_dwordx4 v[14:17], v14, s[44:47], 0 offen
	s_load_dword s6, s[4:5], 0x74
	v_cmp_gt_i32_e32 vcc, s3, v26
	v_cmp_le_i32_e64 s[2:3], s19, v18
	v_cmp_gt_i32_e64 s[0:1], s39, v27
	s_sub_i32 s15, s15, s17
	s_waitcnt lgkmcnt(0)
	s_sub_i32 s18, s18, s6
	v_cmp_gt_i32_e64 s[6:7], s18, v18
	s_and_b64 s[2:3], s[2:3], s[6:7]
	s_and_b64 s[6:7], s[0:1], s[2:3]
	v_cmp_le_i32_e64 s[0:1], s16, v20
	v_cmp_gt_i32_e64 s[2:3], s15, v20
	s_and_b64 s[0:1], s[0:1], s[2:3]
	s_sub_i32 s12, s12, s14
	s_and_b64 s[6:7], s[6:7], s[0:1]
	v_cmp_le_i32_e64 s[0:1], s13, v22
	v_cmp_gt_i32_e64 s[2:3], s12, v22
	s_and_b64 s[0:1], s[0:1], s[2:3]
	s_and_b64 s[0:1], s[6:7], s[0:1]
	v_add_u32_e32 v18, v18, v31
	s_and_b64 s[0:1], vcc, s[0:1]
	v_cmp_le_i32_e64 s[2:3], s19, v18
	v_cmp_gt_i32_e64 s[6:7], s18, v18
	v_add_u32_e32 v20, v20, v32
	s_and_b64 s[2:3], s[2:3], s[6:7]
	v_add_u32_e32 v22, v22, v33
	v_lshlrev_b32_e32 v1, 2, v1
	v_lshl_or_b32 v68, v25, 9, v1
	v_or_b32_e32 v1, 16, v25
	v_mul_lo_u32 v1, s67, v1
	s_mul_i32 s50, s50, 12
	v_lshlrev_b32_e32 v31, 1, v0
	v_and_b32_e32 v32, 0x1f8, v31
	v_mov_b32_e32 v61, 0
	v_mov_b32_e32 v62, 0
	;; [unrolled: 1-line block ×18, first 2 shown]
	s_waitcnt vmcnt(3)
	v_cndmask_b32_e64 v5, 0, v5, s[0:1]
	v_cndmask_b32_e64 v4, 0, v4, s[0:1]
	;; [unrolled: 1-line block ×4, first 2 shown]
	v_cmp_gt_i32_e64 s[0:1], s39, v21
	s_and_b64 s[6:7], s[0:1], s[2:3]
	v_cmp_le_i32_e64 s[0:1], s16, v20
	v_cmp_gt_i32_e64 s[2:3], s15, v20
	s_and_b64 s[0:1], s[0:1], s[2:3]
	s_and_b64 s[6:7], s[6:7], s[0:1]
	v_cmp_le_i32_e64 s[0:1], s13, v22
	v_cmp_gt_i32_e64 s[2:3], s12, v22
	s_and_b64 s[0:1], s[0:1], s[2:3]
	s_and_b64 s[0:1], s[6:7], s[0:1]
	s_and_b64 s[0:1], vcc, s[0:1]
	v_cmp_gt_i32_e64 s[2:3], s43, v24
	v_mov_b32_e32 v45, 0
	v_mov_b32_e32 v48, 0
	s_waitcnt vmcnt(2)
	v_cndmask_b32_e64 v9, 0, v9, s[0:1]
	v_cndmask_b32_e64 v8, 0, v8, s[0:1]
	;; [unrolled: 1-line block ×4, first 2 shown]
	v_cmp_gt_i32_e64 s[0:1], s51, v19
	s_and_b64 s[2:3], s[2:3], s[0:1]
	v_add_u32_e32 v19, s35, v24
	v_mov_b32_e32 v49, 0
	s_waitcnt vmcnt(1)
	v_cndmask_b32_e64 v13, 0, v13, s[2:3]
	v_cndmask_b32_e64 v12, 0, v12, s[2:3]
	;; [unrolled: 1-line block ×4, first 2 shown]
	v_cmp_gt_i32_e64 s[2:3], s43, v19
	s_and_b64 s[2:3], s[2:3], s[0:1]
	s_waitcnt vmcnt(0)
	v_cndmask_b32_e64 v17, 0, v17, s[2:3]
	v_cndmask_b32_e64 v16, 0, v16, s[2:3]
	;; [unrolled: 1-line block ×4, first 2 shown]
	ds_write2st64_b32 v68, v2, v3 offset1:2
	ds_write2st64_b32 v68, v4, v5 offset0:4 offset1:6
	ds_write2st64_b32 v68, v6, v7 offset0:8 offset1:10
	;; [unrolled: 1-line block ×7, first 2 shown]
	v_mul_hi_u32 v2, v1, s26
	v_add_u32_e32 v2, v1, v2
	v_lshrrev_b32_e32 v3, s66, v2
	v_mul_hi_u32 v5, v3, s25
	v_add_u32_e32 v5, v3, v5
	v_lshrrev_b32_e32 v5, s65, v5
	v_mul_hi_u32 v7, v5, s24
	v_add_u32_e32 v7, v5, v7
	v_mul_lo_u32 v6, v5, s21
	v_lshrrev_b32_e32 v9, s64, v7
	v_mul_lo_u32 v2, v3, s22
	v_sub_u32_e32 v6, v3, v6
	v_mul_lo_u32 v7, v9, s20
	v_sub_u32_e32 v2, v1, v2
	v_sub_u32_e32 v3, v6, v28
	;; [unrolled: 1-line block ×6, first 2 shown]
	v_mul_lo_u32 v21, v3, s82
	v_mul_lo_u32 v24, v7, s34
	;; [unrolled: 1-line block ×7, first 2 shown]
	v_add3_u32 v3, v7, v4, v3
	v_add3_u32 v10, v3, v5, v34
	v_or_b32_e32 v3, 20, v25
	v_mul_lo_u32 v25, s67, v3
	v_mul_hi_u32 v3, v25, s26
	v_add_u32_e32 v3, v25, v3
	v_lshrrev_b32_e32 v11, s66, v3
	v_mad_u64_u32 v[2:3], s[2:3], v11, s22, v[2:3]
	v_sub_u32_e32 v12, v25, v2
	v_mul_hi_u32 v2, v11, s25
	v_add_u32_e32 v2, v11, v2
	v_lshrrev_b32_e32 v13, s65, v2
	v_mad_u64_u32 v[6:7], s[2:3], v13, s21, v[6:7]
	v_sub_u32_e32 v11, v11, v6
	v_mul_hi_u32 v6, v13, s24
	v_lshlrev_b32_e32 v4, 2, v10
	v_add_u32_e32 v6, v13, v6
	s_waitcnt lgkmcnt(0)
	s_barrier
	buffer_load_dwordx4 v[2:5], v4, s[8:11], 0 offen
	v_lshrrev_b32_e32 v14, s64, v6
	v_mad_u64_u32 v[6:7], s[2:3], v14, s20, v[8:9]
	v_sub_u32_e32 v6, v13, v6
	v_sub_u32_e32 v7, v14, v9
	v_mul_lo_u32 v26, v11, s82
	v_mul_lo_u32 v27, v6, s80
	;; [unrolled: 1-line block ×6, first 2 shown]
	v_mad_u64_u32 v[6:7], s[2:3], v26, s63, v[6:7]
	v_add3_u32 v6, v6, v8, v9
	v_add_lshl_u32 v6, v6, v10, 2
	buffer_load_dwordx4 v[6:9], v6, s[8:11], 0 offen
	v_add_u32_e32 v14, s50, v35
	v_lshlrev_b32_e32 v10, 2, v14
	buffer_load_dwordx4 v[10:13], v10, s[44:47], 0 offen
	v_add_lshl_u32 v14, v14, s35, 2
	buffer_load_dwordx4 v[14:17], v14, s[44:47], 0 offen
	v_lshrrev_b32_e32 v29, 5, v0
	v_lshlrev_b32_e32 v30, 6, v29
	v_sub_u32_e32 v30, v32, v30
	v_lshlrev_b32_e32 v0, 2, v0
	v_and_or_b32 v64, v0, 4, v30
	v_and_b32_e32 v0, 0x1fc, v31
	v_sub_u32_e32 v0, v0, v32
	v_lshl_add_u32 v65, v29, 3, v0
	v_add_u32_e32 v0, v18, v21
	v_cmp_le_i32_e64 s[6:7], s19, v0
	v_cmp_gt_i32_e64 s[8:9], s18, v0
	v_add_u32_e32 v18, v20, v23
	v_cmp_gt_i32_e64 s[2:3], s39, v1
	s_and_b64 s[6:7], s[6:7], s[8:9]
	s_and_b64 s[8:9], s[2:3], s[6:7]
	v_cmp_le_i32_e64 s[2:3], s16, v18
	v_cmp_gt_i32_e64 s[6:7], s15, v18
	v_add_u32_e32 v20, v22, v24
	s_and_b64 s[2:3], s[2:3], s[6:7]
	s_and_b64 s[8:9], s[8:9], s[2:3]
	v_cmp_le_i32_e64 s[2:3], s13, v20
	v_cmp_gt_i32_e64 s[6:7], s12, v20
	s_and_b64 s[2:3], s[2:3], s[6:7]
	s_and_b64 s[2:3], s[8:9], s[2:3]
	v_add_u32_e32 v0, v0, v26
	s_and_b64 s[2:3], vcc, s[2:3]
	v_cmp_le_i32_e64 s[6:7], s19, v0
	v_cmp_gt_i32_e64 s[8:9], s18, v0
	v_add_u32_e32 v1, v18, v27
	s_and_b64 s[6:7], s[6:7], s[8:9]
	v_add_u32_e32 v19, s50, v19
	v_lshlrev_b32_e32 v66, 2, v65
	v_lshlrev_b32_e32 v67, 2, v64
	v_add_u32_e32 v0, s35, v19
	ds_read_b128 v[30:33], v66
	ds_read_b128 v[52:55], v67 offset:16384
	ds_read_b128 v[86:89], v67 offset:16640
	ds_read_b128 v[90:93], v66 offset:256
	v_mov_b32_e32 v18, 0
	v_mov_b32_e32 v24, 0
	;; [unrolled: 1-line block ×12, first 2 shown]
	v_add_u32_e32 v65, s27, v65
	v_add_u32_e32 v64, s33, v64
	s_mov_b32 s51, s11
	v_or_b32_e32 v102, 2, v65
	v_or_b32_e32 v103, 3, v65
	v_add_u32_e32 v104, 64, v65
	s_waitcnt vmcnt(3)
	v_cndmask_b32_e64 v69, 0, v5, s[2:3]
	v_cndmask_b32_e64 v70, 0, v4, s[2:3]
	;; [unrolled: 1-line block ×4, first 2 shown]
	v_cmp_gt_i32_e64 s[2:3], s39, v25
	s_and_b64 s[8:9], s[2:3], s[6:7]
	v_cmp_le_i32_e64 s[2:3], s16, v1
	v_cmp_gt_i32_e64 s[6:7], s15, v1
	v_add_u32_e32 v2, v20, v28
	s_and_b64 s[2:3], s[2:3], s[6:7]
	s_and_b64 s[8:9], s[8:9], s[2:3]
	v_cmp_le_i32_e64 s[2:3], s13, v2
	v_cmp_gt_i32_e64 s[6:7], s12, v2
	s_and_b64 s[2:3], s[2:3], s[6:7]
	s_and_b64 s[2:3], s[8:9], s[2:3]
	s_and_b64 vcc, vcc, s[2:3]
	s_waitcnt vmcnt(2)
	v_cndmask_b32_e32 v73, 0, v9, vcc
	v_cndmask_b32_e32 v74, 0, v8, vcc
	;; [unrolled: 1-line block ×4, first 2 shown]
	v_cmp_gt_i32_e32 vcc, s43, v19
	s_and_b64 vcc, vcc, s[0:1]
	s_waitcnt vmcnt(1)
	v_cndmask_b32_e32 v77, 0, v13, vcc
	v_cndmask_b32_e32 v78, 0, v12, vcc
	v_cndmask_b32_e32 v79, 0, v11, vcc
	v_cndmask_b32_e32 v80, 0, v10, vcc
	v_cmp_gt_i32_e32 vcc, s43, v0
	s_and_b64 vcc, vcc, s[0:1]
	s_waitcnt vmcnt(0)
	v_cndmask_b32_e32 v81, 0, v17, vcc
	v_cndmask_b32_e32 v82, 0, v16, vcc
	;; [unrolled: 1-line block ×4, first 2 shown]
	v_mov_b32_e32 v0, 0
	v_mov_b32_e32 v1, 0
	;; [unrolled: 1-line block ×21, first 2 shown]
	s_waitcnt lgkmcnt(2)
	;;#ASMSTART
	
             v_fmac_f32 v0, v30, v52 
             
	;;#ASMEND
	;;#ASMSTART
	
             v_fmac_f32 v1, v30, v53 
             
	;;#ASMEND
	;; [unrolled: 5-line block ×16, first 2 shown]
	s_waitcnt lgkmcnt(1)
	;;#ASMSTART
	
             v_fmac_f32 v4, v30, v86 
             
	;;#ASMEND
	;;#ASMSTART
	
             v_fmac_f32 v5, v30, v87 
             
	;;#ASMEND
	;; [unrolled: 5-line block ×16, first 2 shown]
	v_mov_b32_e32 v30, 0
	v_mov_b32_e32 v31, 0
	;; [unrolled: 1-line block ×4, first 2 shown]
	ds_read_b128 v[94:97], v66 offset:512
	s_waitcnt lgkmcnt(1)
	;;#ASMSTART
	
             v_fmac_f32 v46, v90, v52 
             
	;;#ASMEND
	;;#ASMSTART
	
             v_fmac_f32 v47, v90, v53 
             
	;;#ASMEND
	;; [unrolled: 5-line block ×16, first 2 shown]
	v_mov_b32_e32 v52, 0
	v_mov_b32_e32 v53, 0
	;; [unrolled: 1-line block ×5, first 2 shown]
	ds_read_b128 v[98:101], v67 offset:16896
	;;#ASMSTART
	
             v_fmac_f32 v56, v90, v86 
             
	;;#ASMEND
	;;#ASMSTART
	
             v_fmac_f32 v57, v90, v87 
             
	;;#ASMEND
	;;#ASMSTART
	
             v_fmac_f32 v58, v90, v88 
             
	;;#ASMEND
	;;#ASMSTART
	
             v_fmac_f32 v59, v90, v89 
             
	;;#ASMEND
	;;#ASMSTART
	
             v_fmac_f32 v52, v91, v86 
             
	;;#ASMEND
	;;#ASMSTART
	
             v_fmac_f32 v53, v91, v87 
             
	;;#ASMEND
	;;#ASMSTART
	
             v_fmac_f32 v54, v91, v88 
             
	;;#ASMEND
	;;#ASMSTART
	
             v_fmac_f32 v55, v91, v89 
             
	;;#ASMEND
	;;#ASMSTART
	
             v_fmac_f32 v44, v92, v86 
             
	;;#ASMEND
	;;#ASMSTART
	
             v_fmac_f32 v45, v92, v87 
             
	;;#ASMEND
	;;#ASMSTART
	
             v_fmac_f32 v48, v92, v88 
             
	;;#ASMEND
	;;#ASMSTART
	
             v_fmac_f32 v49, v92, v89 
             
	;;#ASMEND
	;;#ASMSTART
	
             v_fmac_f32 v38, v93, v86 
             
	;;#ASMEND
	;;#ASMSTART
	
             v_fmac_f32 v39, v93, v87 
             
	;;#ASMEND
	;;#ASMSTART
	
             v_fmac_f32 v28, v93, v88 
             
	;;#ASMEND
	;;#ASMSTART
	
             v_fmac_f32 v29, v93, v89 
             
	;;#ASMEND
	ds_read_b128 v[86:89], v67 offset:17152
	ds_read_b128 v[90:93], v66 offset:768
	s_waitcnt lgkmcnt(2)
	;;#ASMSTART
	
             v_fmac_f32 v0, v94, v98 
             
	;;#ASMEND
	;;#ASMSTART
	
             v_fmac_f32 v1, v94, v99 
             
	;;#ASMEND
	;; [unrolled: 5-line block ×16, first 2 shown]
	s_waitcnt lgkmcnt(1)
	;;#ASMSTART
	
             v_fmac_f32 v4, v94, v86 
             
	;;#ASMEND
	;;#ASMSTART
	
             v_fmac_f32 v5, v94, v87 
             
	;;#ASMEND
	;; [unrolled: 5-line block ×16, first 2 shown]
	ds_read_b128 v[94:97], v66 offset:1024
	s_waitcnt lgkmcnt(1)
	;;#ASMSTART
	
             v_fmac_f32 v46, v90, v98 
             
	;;#ASMEND
	;;#ASMSTART
	
             v_fmac_f32 v47, v90, v99 
             
	;;#ASMEND
	;; [unrolled: 5-line block ×16, first 2 shown]
	ds_read_b128 v[98:101], v67 offset:17408
	;;#ASMSTART
	
             v_fmac_f32 v56, v90, v86 
             
	;;#ASMEND
	;;#ASMSTART
	
             v_fmac_f32 v57, v90, v87 
             
	;;#ASMEND
	;; [unrolled: 5-line block ×16, first 2 shown]
	ds_read_b128 v[86:89], v67 offset:17664
	ds_read_b128 v[90:93], v66 offset:1280
	s_waitcnt lgkmcnt(2)
	;;#ASMSTART
	
             v_fmac_f32 v0, v94, v98 
             
	;;#ASMEND
	;;#ASMSTART
	
             v_fmac_f32 v1, v94, v99 
             
	;;#ASMEND
	;; [unrolled: 5-line block ×16, first 2 shown]
	s_waitcnt lgkmcnt(1)
	;;#ASMSTART
	
             v_fmac_f32 v4, v94, v86 
             
	;;#ASMEND
	;;#ASMSTART
	
             v_fmac_f32 v5, v94, v87 
             
	;;#ASMEND
	;; [unrolled: 5-line block ×16, first 2 shown]
	ds_read_b128 v[94:97], v66 offset:1536
	s_waitcnt lgkmcnt(1)
	;;#ASMSTART
	
             v_fmac_f32 v46, v90, v98 
             
	;;#ASMEND
	;;#ASMSTART
	
             v_fmac_f32 v47, v90, v99 
             
	;;#ASMEND
	;; [unrolled: 5-line block ×16, first 2 shown]
	ds_read_b128 v[98:101], v67 offset:17920
	;;#ASMSTART
	
             v_fmac_f32 v56, v90, v86 
             
	;;#ASMEND
	;;#ASMSTART
	
             v_fmac_f32 v57, v90, v87 
             
	;;#ASMEND
	;; [unrolled: 5-line block ×16, first 2 shown]
	ds_read_b128 v[86:89], v67 offset:18176
	ds_read_b128 v[90:93], v66 offset:1792
	s_waitcnt lgkmcnt(2)
	;;#ASMSTART
	
             v_fmac_f32 v0, v94, v98 
             
	;;#ASMEND
	;;#ASMSTART
	
             v_fmac_f32 v1, v94, v99 
             
	;;#ASMEND
	;; [unrolled: 5-line block ×16, first 2 shown]
	s_waitcnt lgkmcnt(1)
	;;#ASMSTART
	
             v_fmac_f32 v4, v94, v86 
             
	;;#ASMEND
	;;#ASMSTART
	
             v_fmac_f32 v5, v94, v87 
             
	;;#ASMEND
	;; [unrolled: 5-line block ×16, first 2 shown]
	ds_read_b128 v[94:97], v66 offset:2048
	s_waitcnt lgkmcnt(1)
	;;#ASMSTART
	
             v_fmac_f32 v46, v90, v98 
             
	;;#ASMEND
	;;#ASMSTART
	
             v_fmac_f32 v47, v90, v99 
             
	;;#ASMEND
	;; [unrolled: 5-line block ×16, first 2 shown]
	ds_read_b128 v[98:101], v67 offset:18432
	;;#ASMSTART
	
             v_fmac_f32 v56, v90, v86 
             
	;;#ASMEND
	;;#ASMSTART
	
             v_fmac_f32 v57, v90, v87 
             
	;;#ASMEND
	;; [unrolled: 5-line block ×16, first 2 shown]
	ds_read_b128 v[86:89], v67 offset:18688
	ds_read_b128 v[90:93], v66 offset:2304
	s_waitcnt lgkmcnt(2)
	;;#ASMSTART
	
             v_fmac_f32 v0, v94, v98 
             
	;;#ASMEND
	;;#ASMSTART
	
             v_fmac_f32 v1, v94, v99 
             
	;;#ASMEND
	;; [unrolled: 5-line block ×16, first 2 shown]
	s_waitcnt lgkmcnt(1)
	;;#ASMSTART
	
             v_fmac_f32 v4, v94, v86 
             
	;;#ASMEND
	;;#ASMSTART
	
             v_fmac_f32 v5, v94, v87 
             
	;;#ASMEND
	;; [unrolled: 5-line block ×16, first 2 shown]
	ds_read_b128 v[94:97], v66 offset:2560
	s_waitcnt lgkmcnt(1)
	;;#ASMSTART
	
             v_fmac_f32 v46, v90, v98 
             
	;;#ASMEND
	;;#ASMSTART
	
             v_fmac_f32 v47, v90, v99 
             
	;;#ASMEND
	;; [unrolled: 5-line block ×16, first 2 shown]
	ds_read_b128 v[98:101], v67 offset:18944
	;;#ASMSTART
	
             v_fmac_f32 v56, v90, v86 
             
	;;#ASMEND
	;;#ASMSTART
	
             v_fmac_f32 v57, v90, v87 
             
	;;#ASMEND
	;; [unrolled: 5-line block ×16, first 2 shown]
	ds_read_b128 v[86:89], v67 offset:19200
	ds_read_b128 v[90:93], v66 offset:2816
	s_waitcnt lgkmcnt(2)
	;;#ASMSTART
	
             v_fmac_f32 v0, v94, v98 
             
	;;#ASMEND
	;;#ASMSTART
	
             v_fmac_f32 v1, v94, v99 
             
	;;#ASMEND
	;; [unrolled: 5-line block ×16, first 2 shown]
	s_waitcnt lgkmcnt(1)
	;;#ASMSTART
	
             v_fmac_f32 v4, v94, v86 
             
	;;#ASMEND
	;;#ASMSTART
	
             v_fmac_f32 v5, v94, v87 
             
	;;#ASMEND
	;; [unrolled: 5-line block ×16, first 2 shown]
	ds_read_b128 v[94:97], v66 offset:3072
	s_waitcnt lgkmcnt(1)
	;;#ASMSTART
	
             v_fmac_f32 v46, v90, v98 
             
	;;#ASMEND
	;;#ASMSTART
	
             v_fmac_f32 v47, v90, v99 
             
	;;#ASMEND
	;; [unrolled: 5-line block ×16, first 2 shown]
	ds_read_b128 v[98:101], v67 offset:19456
	;;#ASMSTART
	
             v_fmac_f32 v56, v90, v86 
             
	;;#ASMEND
	;;#ASMSTART
	
             v_fmac_f32 v57, v90, v87 
             
	;;#ASMEND
	;; [unrolled: 5-line block ×16, first 2 shown]
	ds_read_b128 v[86:89], v67 offset:19712
	ds_read_b128 v[90:93], v66 offset:3328
	s_waitcnt lgkmcnt(2)
	;;#ASMSTART
	
             v_fmac_f32 v0, v94, v98 
             
	;;#ASMEND
	;;#ASMSTART
	
             v_fmac_f32 v1, v94, v99 
             
	;;#ASMEND
	;; [unrolled: 5-line block ×16, first 2 shown]
	s_waitcnt lgkmcnt(1)
	;;#ASMSTART
	
             v_fmac_f32 v4, v94, v86 
             
	;;#ASMEND
	;;#ASMSTART
	
             v_fmac_f32 v5, v94, v87 
             
	;;#ASMEND
	;; [unrolled: 5-line block ×16, first 2 shown]
	ds_read_b128 v[94:97], v66 offset:3584
	s_waitcnt lgkmcnt(1)
	;;#ASMSTART
	
             v_fmac_f32 v46, v90, v98 
             
	;;#ASMEND
	;;#ASMSTART
	
             v_fmac_f32 v47, v90, v99 
             
	;;#ASMEND
	;; [unrolled: 5-line block ×16, first 2 shown]
	ds_read_b128 v[98:101], v67 offset:19968
	;;#ASMSTART
	
             v_fmac_f32 v56, v90, v86 
             
	;;#ASMEND
	;;#ASMSTART
	
             v_fmac_f32 v57, v90, v87 
             
	;;#ASMEND
	;; [unrolled: 5-line block ×16, first 2 shown]
	ds_read_b128 v[86:89], v67 offset:20224
	ds_read_b128 v[90:93], v66 offset:3840
	s_waitcnt lgkmcnt(2)
	;;#ASMSTART
	
             v_fmac_f32 v0, v94, v98 
             
	;;#ASMEND
	;;#ASMSTART
	
             v_fmac_f32 v1, v94, v99 
             
	;;#ASMEND
	;; [unrolled: 5-line block ×16, first 2 shown]
	s_waitcnt lgkmcnt(1)
	;;#ASMSTART
	
             v_fmac_f32 v4, v94, v86 
             
	;;#ASMEND
	;;#ASMSTART
	
             v_fmac_f32 v5, v94, v87 
             
	;;#ASMEND
	;;#ASMSTART
	
             v_fmac_f32 v6, v94, v88 
             
	;;#ASMEND
	;;#ASMSTART
	
             v_fmac_f32 v7, v94, v89 
             
	;;#ASMEND
	;;#ASMSTART
	
             v_fmac_f32 v12, v95, v86 
             
	;;#ASMEND
	;;#ASMSTART
	
             v_fmac_f32 v13, v95, v87 
             
	;;#ASMEND
	;;#ASMSTART
	
             v_fmac_f32 v14, v95, v88 
             
	;;#ASMEND
	;;#ASMSTART
	
             v_fmac_f32 v15, v95, v89 
             
	;;#ASMEND
	;;#ASMSTART
	
             v_fmac_f32 v20, v96, v86 
             
	;;#ASMEND
	;;#ASMSTART
	
             v_fmac_f32 v21, v96, v87 
             
	;;#ASMEND
	;;#ASMSTART
	
             v_fmac_f32 v22, v96, v88 
             
	;;#ASMEND
	;;#ASMSTART
	
             v_fmac_f32 v23, v96, v89 
             
	;;#ASMEND
	;;#ASMSTART
	
             v_fmac_f32 v60, v97, v86 
             
	;;#ASMEND
	;;#ASMSTART
	
             v_fmac_f32 v61, v97, v87 
             
	;;#ASMEND
	;;#ASMSTART
	
             v_fmac_f32 v62, v97, v88 
             
	;;#ASMEND
	;;#ASMSTART
	
             v_fmac_f32 v63, v97, v89 
             
	;;#ASMEND
	ds_read_b128 v[94:97], v66 offset:4096
	s_waitcnt lgkmcnt(1)
	;;#ASMSTART
	
             v_fmac_f32 v46, v90, v98 
             
	;;#ASMEND
	;;#ASMSTART
	
             v_fmac_f32 v47, v90, v99 
             
	;;#ASMEND
	;; [unrolled: 5-line block ×16, first 2 shown]
	ds_read_b128 v[98:101], v67 offset:20480
	;;#ASMSTART
	
             v_fmac_f32 v56, v90, v86 
             
	;;#ASMEND
	;;#ASMSTART
	
             v_fmac_f32 v57, v90, v87 
             
	;;#ASMEND
	;;#ASMSTART
	
             v_fmac_f32 v58, v90, v88 
             
	;;#ASMEND
	;;#ASMSTART
	
             v_fmac_f32 v59, v90, v89 
             
	;;#ASMEND
	;;#ASMSTART
	
             v_fmac_f32 v52, v91, v86 
             
	;;#ASMEND
	;;#ASMSTART
	
             v_fmac_f32 v53, v91, v87 
             
	;;#ASMEND
	;;#ASMSTART
	
             v_fmac_f32 v54, v91, v88 
             
	;;#ASMEND
	;;#ASMSTART
	
             v_fmac_f32 v55, v91, v89 
             
	;;#ASMEND
	;;#ASMSTART
	
             v_fmac_f32 v44, v92, v86 
             
	;;#ASMEND
	;;#ASMSTART
	
             v_fmac_f32 v45, v92, v87 
             
	;;#ASMEND
	;;#ASMSTART
	
             v_fmac_f32 v48, v92, v88 
             
	;;#ASMEND
	;;#ASMSTART
	
             v_fmac_f32 v49, v92, v89 
             
	;;#ASMEND
	;;#ASMSTART
	
             v_fmac_f32 v38, v93, v86 
             
	;;#ASMEND
	;;#ASMSTART
	
             v_fmac_f32 v39, v93, v87 
             
	;;#ASMEND
	;;#ASMSTART
	
             v_fmac_f32 v28, v93, v88 
             
	;;#ASMEND
	;;#ASMSTART
	
             v_fmac_f32 v29, v93, v89 
             
	;;#ASMEND
	ds_read_b128 v[86:89], v67 offset:20736
	ds_read_b128 v[90:93], v66 offset:4352
	s_waitcnt lgkmcnt(2)
	;;#ASMSTART
	
             v_fmac_f32 v0, v94, v98 
             
	;;#ASMEND
	;;#ASMSTART
	
             v_fmac_f32 v1, v94, v99 
             
	;;#ASMEND
	;; [unrolled: 5-line block ×16, first 2 shown]
	s_waitcnt lgkmcnt(1)
	;;#ASMSTART
	
             v_fmac_f32 v4, v94, v86 
             
	;;#ASMEND
	;;#ASMSTART
	
             v_fmac_f32 v5, v94, v87 
             
	;;#ASMEND
	;; [unrolled: 5-line block ×16, first 2 shown]
	ds_read_b128 v[94:97], v66 offset:4608
	s_waitcnt lgkmcnt(1)
	;;#ASMSTART
	
             v_fmac_f32 v46, v90, v98 
             
	;;#ASMEND
	;;#ASMSTART
	
             v_fmac_f32 v47, v90, v99 
             
	;;#ASMEND
	;; [unrolled: 5-line block ×16, first 2 shown]
	ds_read_b128 v[98:101], v67 offset:20992
	;;#ASMSTART
	
             v_fmac_f32 v56, v90, v86 
             
	;;#ASMEND
	;;#ASMSTART
	
             v_fmac_f32 v57, v90, v87 
             
	;;#ASMEND
	;;#ASMSTART
	
             v_fmac_f32 v58, v90, v88 
             
	;;#ASMEND
	;;#ASMSTART
	
             v_fmac_f32 v59, v90, v89 
             
	;;#ASMEND
	;;#ASMSTART
	
             v_fmac_f32 v52, v91, v86 
             
	;;#ASMEND
	;;#ASMSTART
	
             v_fmac_f32 v53, v91, v87 
             
	;;#ASMEND
	;;#ASMSTART
	
             v_fmac_f32 v54, v91, v88 
             
	;;#ASMEND
	;;#ASMSTART
	
             v_fmac_f32 v55, v91, v89 
             
	;;#ASMEND
	;;#ASMSTART
	
             v_fmac_f32 v44, v92, v86 
             
	;;#ASMEND
	;;#ASMSTART
	
             v_fmac_f32 v45, v92, v87 
             
	;;#ASMEND
	;;#ASMSTART
	
             v_fmac_f32 v48, v92, v88 
             
	;;#ASMEND
	;;#ASMSTART
	
             v_fmac_f32 v49, v92, v89 
             
	;;#ASMEND
	;;#ASMSTART
	
             v_fmac_f32 v38, v93, v86 
             
	;;#ASMEND
	;;#ASMSTART
	
             v_fmac_f32 v39, v93, v87 
             
	;;#ASMEND
	;;#ASMSTART
	
             v_fmac_f32 v28, v93, v88 
             
	;;#ASMEND
	;;#ASMSTART
	
             v_fmac_f32 v29, v93, v89 
             
	;;#ASMEND
	ds_read_b128 v[86:89], v67 offset:21248
	ds_read_b128 v[90:93], v66 offset:4864
	s_waitcnt lgkmcnt(2)
	;;#ASMSTART
	
             v_fmac_f32 v0, v94, v98 
             
	;;#ASMEND
	;;#ASMSTART
	
             v_fmac_f32 v1, v94, v99 
             
	;;#ASMEND
	;; [unrolled: 5-line block ×16, first 2 shown]
	s_waitcnt lgkmcnt(1)
	;;#ASMSTART
	
             v_fmac_f32 v4, v94, v86 
             
	;;#ASMEND
	;;#ASMSTART
	
             v_fmac_f32 v5, v94, v87 
             
	;;#ASMEND
	;; [unrolled: 5-line block ×16, first 2 shown]
	ds_read_b128 v[94:97], v66 offset:5120
	s_waitcnt lgkmcnt(1)
	;;#ASMSTART
	
             v_fmac_f32 v46, v90, v98 
             
	;;#ASMEND
	;;#ASMSTART
	
             v_fmac_f32 v47, v90, v99 
             
	;;#ASMEND
	;; [unrolled: 5-line block ×16, first 2 shown]
	ds_read_b128 v[98:101], v67 offset:21504
	;;#ASMSTART
	
             v_fmac_f32 v56, v90, v86 
             
	;;#ASMEND
	;;#ASMSTART
	
             v_fmac_f32 v57, v90, v87 
             
	;;#ASMEND
	;; [unrolled: 5-line block ×16, first 2 shown]
	ds_read_b128 v[86:89], v67 offset:21760
	ds_read_b128 v[90:93], v66 offset:5376
	s_waitcnt lgkmcnt(2)
	;;#ASMSTART
	
             v_fmac_f32 v0, v94, v98 
             
	;;#ASMEND
	;;#ASMSTART
	
             v_fmac_f32 v1, v94, v99 
             
	;;#ASMEND
	;; [unrolled: 5-line block ×16, first 2 shown]
	s_waitcnt lgkmcnt(1)
	;;#ASMSTART
	
             v_fmac_f32 v4, v94, v86 
             
	;;#ASMEND
	;;#ASMSTART
	
             v_fmac_f32 v5, v94, v87 
             
	;;#ASMEND
	;; [unrolled: 5-line block ×16, first 2 shown]
	ds_read_b128 v[94:97], v66 offset:5632
	s_waitcnt lgkmcnt(1)
	;;#ASMSTART
	
             v_fmac_f32 v46, v90, v98 
             
	;;#ASMEND
	;;#ASMSTART
	
             v_fmac_f32 v47, v90, v99 
             
	;;#ASMEND
	;; [unrolled: 5-line block ×16, first 2 shown]
	ds_read_b128 v[98:101], v67 offset:22016
	;;#ASMSTART
	
             v_fmac_f32 v56, v90, v86 
             
	;;#ASMEND
	;;#ASMSTART
	
             v_fmac_f32 v57, v90, v87 
             
	;;#ASMEND
	;; [unrolled: 5-line block ×16, first 2 shown]
	ds_read_b128 v[86:89], v67 offset:22272
	ds_read_b128 v[90:93], v66 offset:5888
	s_waitcnt lgkmcnt(2)
	;;#ASMSTART
	
             v_fmac_f32 v0, v94, v98 
             
	;;#ASMEND
	;;#ASMSTART
	
             v_fmac_f32 v1, v94, v99 
             
	;;#ASMEND
	;; [unrolled: 5-line block ×16, first 2 shown]
	s_waitcnt lgkmcnt(1)
	;;#ASMSTART
	
             v_fmac_f32 v4, v94, v86 
             
	;;#ASMEND
	;;#ASMSTART
	
             v_fmac_f32 v5, v94, v87 
             
	;;#ASMEND
	;; [unrolled: 5-line block ×16, first 2 shown]
	ds_read_b128 v[94:97], v66 offset:6144
	s_waitcnt lgkmcnt(1)
	;;#ASMSTART
	
             v_fmac_f32 v46, v90, v98 
             
	;;#ASMEND
	;;#ASMSTART
	
             v_fmac_f32 v47, v90, v99 
             
	;;#ASMEND
	;; [unrolled: 5-line block ×16, first 2 shown]
	ds_read_b128 v[98:101], v67 offset:22528
	;;#ASMSTART
	
             v_fmac_f32 v56, v90, v86 
             
	;;#ASMEND
	;;#ASMSTART
	
             v_fmac_f32 v57, v90, v87 
             
	;;#ASMEND
	;; [unrolled: 5-line block ×16, first 2 shown]
	ds_read_b128 v[86:89], v67 offset:22784
	ds_read_b128 v[90:93], v66 offset:6400
	s_waitcnt lgkmcnt(2)
	;;#ASMSTART
	
             v_fmac_f32 v0, v94, v98 
             
	;;#ASMEND
	;;#ASMSTART
	
             v_fmac_f32 v1, v94, v99 
             
	;;#ASMEND
	;; [unrolled: 5-line block ×16, first 2 shown]
	s_waitcnt lgkmcnt(1)
	;;#ASMSTART
	
             v_fmac_f32 v4, v94, v86 
             
	;;#ASMEND
	;;#ASMSTART
	
             v_fmac_f32 v5, v94, v87 
             
	;;#ASMEND
	;; [unrolled: 5-line block ×16, first 2 shown]
	ds_read_b128 v[94:97], v66 offset:6656
	s_waitcnt lgkmcnt(1)
	;;#ASMSTART
	
             v_fmac_f32 v46, v90, v98 
             
	;;#ASMEND
	;;#ASMSTART
	
             v_fmac_f32 v47, v90, v99 
             
	;;#ASMEND
	;; [unrolled: 5-line block ×16, first 2 shown]
	ds_read_b128 v[98:101], v67 offset:23040
	;;#ASMSTART
	
             v_fmac_f32 v56, v90, v86 
             
	;;#ASMEND
	;;#ASMSTART
	
             v_fmac_f32 v57, v90, v87 
             
	;;#ASMEND
	;; [unrolled: 5-line block ×16, first 2 shown]
	ds_read_b128 v[86:89], v67 offset:23296
	ds_read_b128 v[90:93], v66 offset:6912
	s_waitcnt lgkmcnt(2)
	;;#ASMSTART
	
             v_fmac_f32 v0, v94, v98 
             
	;;#ASMEND
	;;#ASMSTART
	
             v_fmac_f32 v1, v94, v99 
             
	;;#ASMEND
	;; [unrolled: 5-line block ×16, first 2 shown]
	s_waitcnt lgkmcnt(1)
	;;#ASMSTART
	
             v_fmac_f32 v4, v94, v86 
             
	;;#ASMEND
	;;#ASMSTART
	
             v_fmac_f32 v5, v94, v87 
             
	;;#ASMEND
	;; [unrolled: 5-line block ×16, first 2 shown]
	ds_read_b128 v[94:97], v66 offset:7168
	s_waitcnt lgkmcnt(1)
	;;#ASMSTART
	
             v_fmac_f32 v46, v90, v98 
             
	;;#ASMEND
	;;#ASMSTART
	
             v_fmac_f32 v47, v90, v99 
             
	;;#ASMEND
	;; [unrolled: 5-line block ×16, first 2 shown]
	ds_read_b128 v[98:101], v67 offset:23552
	;;#ASMSTART
	
             v_fmac_f32 v56, v90, v86 
             
	;;#ASMEND
	;;#ASMSTART
	
             v_fmac_f32 v57, v90, v87 
             
	;;#ASMEND
	;; [unrolled: 5-line block ×16, first 2 shown]
	ds_read_b128 v[86:89], v67 offset:23808
	ds_read_b128 v[90:93], v66 offset:7424
	s_waitcnt lgkmcnt(2)
	;;#ASMSTART
	
             v_fmac_f32 v0, v94, v98 
             
	;;#ASMEND
	;;#ASMSTART
	
             v_fmac_f32 v1, v94, v99 
             
	;;#ASMEND
	;; [unrolled: 5-line block ×16, first 2 shown]
	s_waitcnt lgkmcnt(1)
	;;#ASMSTART
	
             v_fmac_f32 v4, v94, v86 
             
	;;#ASMEND
	;;#ASMSTART
	
             v_fmac_f32 v5, v94, v87 
             
	;;#ASMEND
	;;#ASMSTART
	
             v_fmac_f32 v6, v94, v88 
             
	;;#ASMEND
	;;#ASMSTART
	
             v_fmac_f32 v7, v94, v89 
             
	;;#ASMEND
	;;#ASMSTART
	
             v_fmac_f32 v12, v95, v86 
             
	;;#ASMEND
	;;#ASMSTART
	
             v_fmac_f32 v13, v95, v87 
             
	;;#ASMEND
	;;#ASMSTART
	
             v_fmac_f32 v14, v95, v88 
             
	;;#ASMEND
	;;#ASMSTART
	
             v_fmac_f32 v15, v95, v89 
             
	;;#ASMEND
	;;#ASMSTART
	
             v_fmac_f32 v20, v96, v86 
             
	;;#ASMEND
	;;#ASMSTART
	
             v_fmac_f32 v21, v96, v87 
             
	;;#ASMEND
	;;#ASMSTART
	
             v_fmac_f32 v22, v96, v88 
             
	;;#ASMEND
	;;#ASMSTART
	
             v_fmac_f32 v23, v96, v89 
             
	;;#ASMEND
	;;#ASMSTART
	
             v_fmac_f32 v60, v97, v86 
             
	;;#ASMEND
	;;#ASMSTART
	
             v_fmac_f32 v61, v97, v87 
             
	;;#ASMEND
	;;#ASMSTART
	
             v_fmac_f32 v62, v97, v88 
             
	;;#ASMEND
	;;#ASMSTART
	
             v_fmac_f32 v63, v97, v89 
             
	;;#ASMEND
	ds_read_b128 v[94:97], v66 offset:7680
	s_waitcnt lgkmcnt(1)
	;;#ASMSTART
	
             v_fmac_f32 v46, v90, v98 
             
	;;#ASMEND
	;;#ASMSTART
	
             v_fmac_f32 v47, v90, v99 
             
	;;#ASMEND
	;; [unrolled: 5-line block ×16, first 2 shown]
	ds_read_b128 v[98:101], v67 offset:24064
	;;#ASMSTART
	
             v_fmac_f32 v56, v90, v86 
             
	;;#ASMEND
	;;#ASMSTART
	
             v_fmac_f32 v57, v90, v87 
             
	;;#ASMEND
	;; [unrolled: 5-line block ×16, first 2 shown]
	ds_read_b128 v[86:89], v67 offset:24320
	ds_read_b128 v[90:93], v66 offset:7936
	s_waitcnt lgkmcnt(2)
	;;#ASMSTART
	
             v_fmac_f32 v0, v94, v98 
             
	;;#ASMEND
	;;#ASMSTART
	
             v_fmac_f32 v1, v94, v99 
             
	;;#ASMEND
	;; [unrolled: 5-line block ×16, first 2 shown]
	s_waitcnt lgkmcnt(1)
	;;#ASMSTART
	
             v_fmac_f32 v4, v94, v86 
             
	;;#ASMEND
	;;#ASMSTART
	
             v_fmac_f32 v5, v94, v87 
             
	;;#ASMEND
	;; [unrolled: 5-line block ×16, first 2 shown]
	s_waitcnt lgkmcnt(0)
	;;#ASMSTART
	
             v_fmac_f32 v46, v90, v98 
             
	;;#ASMEND
	;;#ASMSTART
	
             v_fmac_f32 v47, v90, v99 
             
	;;#ASMEND
	;; [unrolled: 5-line block ×32, first 2 shown]
	ds_write2st64_b32 v68, v72, v71 offset0:32 offset1:34
	ds_write2st64_b32 v68, v70, v69 offset0:36 offset1:38
	;; [unrolled: 1-line block ×8, first 2 shown]
	s_waitcnt lgkmcnt(0)
	s_barrier
	ds_read_b128 v[68:71], v66 offset:8192
	ds_read_b128 v[72:75], v67 offset:24576
	s_load_dword s0, s[4:5], 0x210
	s_load_dwordx2 s[6:7], s[4:5], 0x220
	s_load_dword s8, s[4:5], 0x22c
	s_load_dword s9, s[4:5], 0x238
	;; [unrolled: 1-line block ×3, first 2 shown]
	ds_read_b128 v[76:79], v67 offset:24832
	ds_read_b128 v[80:83], v66 offset:8448
	s_waitcnt lgkmcnt(0)
	;;#ASMSTART
	
             v_fmac_f32 v0, v68, v72 
             
	;;#ASMEND
	;;#ASMSTART
	
             v_fmac_f32 v1, v68, v73 
             
	;;#ASMEND
	;; [unrolled: 5-line block ×32, first 2 shown]
	ds_read_b128 v[68:71], v66 offset:8704
	;;#ASMSTART
	
             v_fmac_f32 v46, v80, v72 
             
	;;#ASMEND
	;;#ASMSTART
	
             v_fmac_f32 v47, v80, v73 
             
	;;#ASMEND
	;; [unrolled: 5-line block ×16, first 2 shown]
	ds_read_b128 v[72:75], v67 offset:25088
	;;#ASMSTART
	
             v_fmac_f32 v56, v80, v76 
             
	;;#ASMEND
	;;#ASMSTART
	
             v_fmac_f32 v57, v80, v77 
             
	;;#ASMEND
	;; [unrolled: 5-line block ×16, first 2 shown]
	ds_read_b128 v[76:79], v67 offset:25344
	ds_read_b128 v[80:83], v66 offset:8960
	s_waitcnt lgkmcnt(2)
	;;#ASMSTART
	
             v_fmac_f32 v0, v68, v72 
             
	;;#ASMEND
	;;#ASMSTART
	
             v_fmac_f32 v1, v68, v73 
             
	;;#ASMEND
	;; [unrolled: 5-line block ×16, first 2 shown]
	s_waitcnt lgkmcnt(1)
	;;#ASMSTART
	
             v_fmac_f32 v4, v68, v76 
             
	;;#ASMEND
	;;#ASMSTART
	
             v_fmac_f32 v5, v68, v77 
             
	;;#ASMEND
	;; [unrolled: 5-line block ×16, first 2 shown]
	ds_read_b128 v[68:71], v66 offset:9216
	s_waitcnt lgkmcnt(1)
	;;#ASMSTART
	
             v_fmac_f32 v46, v80, v72 
             
	;;#ASMEND
	;;#ASMSTART
	
             v_fmac_f32 v47, v80, v73 
             
	;;#ASMEND
	;; [unrolled: 5-line block ×16, first 2 shown]
	ds_read_b128 v[72:75], v67 offset:25600
	;;#ASMSTART
	
             v_fmac_f32 v56, v80, v76 
             
	;;#ASMEND
	;;#ASMSTART
	
             v_fmac_f32 v57, v80, v77 
             
	;;#ASMEND
	;; [unrolled: 5-line block ×16, first 2 shown]
	ds_read_b128 v[76:79], v67 offset:25856
	ds_read_b128 v[80:83], v66 offset:9472
	s_waitcnt lgkmcnt(2)
	;;#ASMSTART
	
             v_fmac_f32 v0, v68, v72 
             
	;;#ASMEND
	;;#ASMSTART
	
             v_fmac_f32 v1, v68, v73 
             
	;;#ASMEND
	;; [unrolled: 5-line block ×16, first 2 shown]
	s_waitcnt lgkmcnt(1)
	;;#ASMSTART
	
             v_fmac_f32 v4, v68, v76 
             
	;;#ASMEND
	;;#ASMSTART
	
             v_fmac_f32 v5, v68, v77 
             
	;;#ASMEND
	;;#ASMSTART
	
             v_fmac_f32 v6, v68, v78 
             
	;;#ASMEND
	;;#ASMSTART
	
             v_fmac_f32 v7, v68, v79 
             
	;;#ASMEND
	;;#ASMSTART
	
             v_fmac_f32 v12, v69, v76 
             
	;;#ASMEND
	;;#ASMSTART
	
             v_fmac_f32 v13, v69, v77 
             
	;;#ASMEND
	;;#ASMSTART
	
             v_fmac_f32 v14, v69, v78 
             
	;;#ASMEND
	;;#ASMSTART
	
             v_fmac_f32 v15, v69, v79 
             
	;;#ASMEND
	;;#ASMSTART
	
             v_fmac_f32 v20, v70, v76 
             
	;;#ASMEND
	;;#ASMSTART
	
             v_fmac_f32 v21, v70, v77 
             
	;;#ASMEND
	;;#ASMSTART
	
             v_fmac_f32 v22, v70, v78 
             
	;;#ASMEND
	;;#ASMSTART
	
             v_fmac_f32 v23, v70, v79 
             
	;;#ASMEND
	;;#ASMSTART
	
             v_fmac_f32 v60, v71, v76 
             
	;;#ASMEND
	;;#ASMSTART
	
             v_fmac_f32 v61, v71, v77 
             
	;;#ASMEND
	;;#ASMSTART
	
             v_fmac_f32 v62, v71, v78 
             
	;;#ASMEND
	;;#ASMSTART
	
             v_fmac_f32 v63, v71, v79 
             
	;;#ASMEND
	ds_read_b128 v[68:71], v66 offset:9728
	s_waitcnt lgkmcnt(1)
	;;#ASMSTART
	
             v_fmac_f32 v46, v80, v72 
             
	;;#ASMEND
	;;#ASMSTART
	
             v_fmac_f32 v47, v80, v73 
             
	;;#ASMEND
	;; [unrolled: 5-line block ×16, first 2 shown]
	ds_read_b128 v[72:75], v67 offset:26112
	;;#ASMSTART
	
             v_fmac_f32 v56, v80, v76 
             
	;;#ASMEND
	;;#ASMSTART
	
             v_fmac_f32 v57, v80, v77 
             
	;;#ASMEND
	;; [unrolled: 5-line block ×16, first 2 shown]
	ds_read_b128 v[76:79], v67 offset:26368
	ds_read_b128 v[80:83], v66 offset:9984
	s_waitcnt lgkmcnt(2)
	;;#ASMSTART
	
             v_fmac_f32 v0, v68, v72 
             
	;;#ASMEND
	;;#ASMSTART
	
             v_fmac_f32 v1, v68, v73 
             
	;;#ASMEND
	;; [unrolled: 5-line block ×16, first 2 shown]
	s_waitcnt lgkmcnt(1)
	;;#ASMSTART
	
             v_fmac_f32 v4, v68, v76 
             
	;;#ASMEND
	;;#ASMSTART
	
             v_fmac_f32 v5, v68, v77 
             
	;;#ASMEND
	;; [unrolled: 5-line block ×16, first 2 shown]
	ds_read_b128 v[68:71], v66 offset:10240
	s_waitcnt lgkmcnt(1)
	;;#ASMSTART
	
             v_fmac_f32 v46, v80, v72 
             
	;;#ASMEND
	;;#ASMSTART
	
             v_fmac_f32 v47, v80, v73 
             
	;;#ASMEND
	;; [unrolled: 5-line block ×16, first 2 shown]
	ds_read_b128 v[72:75], v67 offset:26624
	;;#ASMSTART
	
             v_fmac_f32 v56, v80, v76 
             
	;;#ASMEND
	;;#ASMSTART
	
             v_fmac_f32 v57, v80, v77 
             
	;;#ASMEND
	;; [unrolled: 5-line block ×16, first 2 shown]
	ds_read_b128 v[76:79], v67 offset:26880
	ds_read_b128 v[80:83], v66 offset:10496
	s_waitcnt lgkmcnt(2)
	;;#ASMSTART
	
             v_fmac_f32 v0, v68, v72 
             
	;;#ASMEND
	;;#ASMSTART
	
             v_fmac_f32 v1, v68, v73 
             
	;;#ASMEND
	;; [unrolled: 5-line block ×16, first 2 shown]
	s_waitcnt lgkmcnt(1)
	;;#ASMSTART
	
             v_fmac_f32 v4, v68, v76 
             
	;;#ASMEND
	;;#ASMSTART
	
             v_fmac_f32 v5, v68, v77 
             
	;;#ASMEND
	;; [unrolled: 5-line block ×16, first 2 shown]
	ds_read_b128 v[68:71], v66 offset:10752
	s_waitcnt lgkmcnt(1)
	;;#ASMSTART
	
             v_fmac_f32 v46, v80, v72 
             
	;;#ASMEND
	;;#ASMSTART
	
             v_fmac_f32 v47, v80, v73 
             
	;;#ASMEND
	;; [unrolled: 5-line block ×16, first 2 shown]
	ds_read_b128 v[72:75], v67 offset:27136
	;;#ASMSTART
	
             v_fmac_f32 v56, v80, v76 
             
	;;#ASMEND
	;;#ASMSTART
	
             v_fmac_f32 v57, v80, v77 
             
	;;#ASMEND
	;; [unrolled: 5-line block ×16, first 2 shown]
	ds_read_b128 v[76:79], v67 offset:27392
	ds_read_b128 v[80:83], v66 offset:11008
	s_waitcnt lgkmcnt(2)
	;;#ASMSTART
	
             v_fmac_f32 v0, v68, v72 
             
	;;#ASMEND
	;;#ASMSTART
	
             v_fmac_f32 v1, v68, v73 
             
	;;#ASMEND
	;; [unrolled: 5-line block ×16, first 2 shown]
	s_waitcnt lgkmcnt(1)
	;;#ASMSTART
	
             v_fmac_f32 v4, v68, v76 
             
	;;#ASMEND
	;;#ASMSTART
	
             v_fmac_f32 v5, v68, v77 
             
	;;#ASMEND
	;; [unrolled: 5-line block ×16, first 2 shown]
	ds_read_b128 v[68:71], v66 offset:11264
	s_waitcnt lgkmcnt(1)
	;;#ASMSTART
	
             v_fmac_f32 v46, v80, v72 
             
	;;#ASMEND
	;;#ASMSTART
	
             v_fmac_f32 v47, v80, v73 
             
	;;#ASMEND
	;; [unrolled: 5-line block ×16, first 2 shown]
	ds_read_b128 v[72:75], v67 offset:27648
	;;#ASMSTART
	
             v_fmac_f32 v56, v80, v76 
             
	;;#ASMEND
	;;#ASMSTART
	
             v_fmac_f32 v57, v80, v77 
             
	;;#ASMEND
	;; [unrolled: 5-line block ×16, first 2 shown]
	ds_read_b128 v[76:79], v67 offset:27904
	ds_read_b128 v[80:83], v66 offset:11520
	s_waitcnt lgkmcnt(2)
	;;#ASMSTART
	
             v_fmac_f32 v0, v68, v72 
             
	;;#ASMEND
	;;#ASMSTART
	
             v_fmac_f32 v1, v68, v73 
             
	;;#ASMEND
	;;#ASMSTART
	
             v_fmac_f32 v2, v68, v74 
             
	;;#ASMEND
	;;#ASMSTART
	
             v_fmac_f32 v3, v68, v75 
             
	;;#ASMEND
	;;#ASMSTART
	
             v_fmac_f32 v8, v69, v72 
             
	;;#ASMEND
	;;#ASMSTART
	
             v_fmac_f32 v9, v69, v73 
             
	;;#ASMEND
	;;#ASMSTART
	
             v_fmac_f32 v10, v69, v74 
             
	;;#ASMEND
	;;#ASMSTART
	
             v_fmac_f32 v11, v69, v75 
             
	;;#ASMEND
	;;#ASMSTART
	
             v_fmac_f32 v18, v70, v72 
             
	;;#ASMEND
	;;#ASMSTART
	
             v_fmac_f32 v19, v70, v73 
             
	;;#ASMEND
	;;#ASMSTART
	
             v_fmac_f32 v16, v70, v74 
             
	;;#ASMEND
	;;#ASMSTART
	
             v_fmac_f32 v17, v70, v75 
             
	;;#ASMEND
	;;#ASMSTART
	
             v_fmac_f32 v24, v71, v72 
             
	;;#ASMEND
	;;#ASMSTART
	
             v_fmac_f32 v25, v71, v73 
             
	;;#ASMEND
	;;#ASMSTART
	
             v_fmac_f32 v26, v71, v74 
             
	;;#ASMEND
	;;#ASMSTART
	
             v_fmac_f32 v27, v71, v75 
             
	;;#ASMEND
	s_waitcnt lgkmcnt(1)
	;;#ASMSTART
	
             v_fmac_f32 v4, v68, v76 
             
	;;#ASMEND
	;;#ASMSTART
	
             v_fmac_f32 v5, v68, v77 
             
	;;#ASMEND
	;; [unrolled: 5-line block ×16, first 2 shown]
	ds_read_b128 v[68:71], v66 offset:11776
	s_waitcnt lgkmcnt(1)
	;;#ASMSTART
	
             v_fmac_f32 v46, v80, v72 
             
	;;#ASMEND
	;;#ASMSTART
	
             v_fmac_f32 v47, v80, v73 
             
	;;#ASMEND
	;; [unrolled: 5-line block ×16, first 2 shown]
	ds_read_b128 v[72:75], v67 offset:28160
	;;#ASMSTART
	
             v_fmac_f32 v56, v80, v76 
             
	;;#ASMEND
	;;#ASMSTART
	
             v_fmac_f32 v57, v80, v77 
             
	;;#ASMEND
	;; [unrolled: 5-line block ×16, first 2 shown]
	ds_read_b128 v[76:79], v67 offset:28416
	ds_read_b128 v[80:83], v66 offset:12032
	s_waitcnt lgkmcnt(2)
	;;#ASMSTART
	
             v_fmac_f32 v0, v68, v72 
             
	;;#ASMEND
	;;#ASMSTART
	
             v_fmac_f32 v1, v68, v73 
             
	;;#ASMEND
	;; [unrolled: 5-line block ×16, first 2 shown]
	s_waitcnt lgkmcnt(1)
	;;#ASMSTART
	
             v_fmac_f32 v4, v68, v76 
             
	;;#ASMEND
	;;#ASMSTART
	
             v_fmac_f32 v5, v68, v77 
             
	;;#ASMEND
	;; [unrolled: 5-line block ×16, first 2 shown]
	ds_read_b128 v[68:71], v66 offset:12288
	s_waitcnt lgkmcnt(1)
	;;#ASMSTART
	
             v_fmac_f32 v46, v80, v72 
             
	;;#ASMEND
	;;#ASMSTART
	
             v_fmac_f32 v47, v80, v73 
             
	;;#ASMEND
	;; [unrolled: 5-line block ×16, first 2 shown]
	ds_read_b128 v[72:75], v67 offset:28672
	;;#ASMSTART
	
             v_fmac_f32 v56, v80, v76 
             
	;;#ASMEND
	;;#ASMSTART
	
             v_fmac_f32 v57, v80, v77 
             
	;;#ASMEND
	;; [unrolled: 5-line block ×16, first 2 shown]
	ds_read_b128 v[76:79], v67 offset:28928
	ds_read_b128 v[80:83], v66 offset:12544
	s_waitcnt lgkmcnt(2)
	;;#ASMSTART
	
             v_fmac_f32 v0, v68, v72 
             
	;;#ASMEND
	;;#ASMSTART
	
             v_fmac_f32 v1, v68, v73 
             
	;;#ASMEND
	;; [unrolled: 5-line block ×16, first 2 shown]
	s_waitcnt lgkmcnt(1)
	;;#ASMSTART
	
             v_fmac_f32 v4, v68, v76 
             
	;;#ASMEND
	;;#ASMSTART
	
             v_fmac_f32 v5, v68, v77 
             
	;;#ASMEND
	;; [unrolled: 5-line block ×16, first 2 shown]
	ds_read_b128 v[68:71], v66 offset:12800
	s_waitcnt lgkmcnt(1)
	;;#ASMSTART
	
             v_fmac_f32 v46, v80, v72 
             
	;;#ASMEND
	;;#ASMSTART
	
             v_fmac_f32 v47, v80, v73 
             
	;;#ASMEND
	;; [unrolled: 5-line block ×16, first 2 shown]
	ds_read_b128 v[72:75], v67 offset:29184
	;;#ASMSTART
	
             v_fmac_f32 v56, v80, v76 
             
	;;#ASMEND
	;;#ASMSTART
	
             v_fmac_f32 v57, v80, v77 
             
	;;#ASMEND
	;;#ASMSTART
	
             v_fmac_f32 v58, v80, v78 
             
	;;#ASMEND
	;;#ASMSTART
	
             v_fmac_f32 v59, v80, v79 
             
	;;#ASMEND
	;;#ASMSTART
	
             v_fmac_f32 v52, v81, v76 
             
	;;#ASMEND
	;;#ASMSTART
	
             v_fmac_f32 v53, v81, v77 
             
	;;#ASMEND
	;;#ASMSTART
	
             v_fmac_f32 v54, v81, v78 
             
	;;#ASMEND
	;;#ASMSTART
	
             v_fmac_f32 v55, v81, v79 
             
	;;#ASMEND
	;;#ASMSTART
	
             v_fmac_f32 v44, v82, v76 
             
	;;#ASMEND
	;;#ASMSTART
	
             v_fmac_f32 v45, v82, v77 
             
	;;#ASMEND
	;;#ASMSTART
	
             v_fmac_f32 v48, v82, v78 
             
	;;#ASMEND
	;;#ASMSTART
	
             v_fmac_f32 v49, v82, v79 
             
	;;#ASMEND
	;;#ASMSTART
	
             v_fmac_f32 v38, v83, v76 
             
	;;#ASMEND
	;;#ASMSTART
	
             v_fmac_f32 v39, v83, v77 
             
	;;#ASMEND
	;;#ASMSTART
	
             v_fmac_f32 v28, v83, v78 
             
	;;#ASMEND
	;;#ASMSTART
	
             v_fmac_f32 v29, v83, v79 
             
	;;#ASMEND
	ds_read_b128 v[76:79], v67 offset:29440
	ds_read_b128 v[80:83], v66 offset:13056
	s_waitcnt lgkmcnt(2)
	;;#ASMSTART
	
             v_fmac_f32 v0, v68, v72 
             
	;;#ASMEND
	;;#ASMSTART
	
             v_fmac_f32 v1, v68, v73 
             
	;;#ASMEND
	;; [unrolled: 5-line block ×16, first 2 shown]
	s_waitcnt lgkmcnt(1)
	;;#ASMSTART
	
             v_fmac_f32 v4, v68, v76 
             
	;;#ASMEND
	;;#ASMSTART
	
             v_fmac_f32 v5, v68, v77 
             
	;;#ASMEND
	;; [unrolled: 5-line block ×16, first 2 shown]
	ds_read_b128 v[68:71], v66 offset:13312
	s_waitcnt lgkmcnt(1)
	;;#ASMSTART
	
             v_fmac_f32 v46, v80, v72 
             
	;;#ASMEND
	;;#ASMSTART
	
             v_fmac_f32 v47, v80, v73 
             
	;;#ASMEND
	;; [unrolled: 5-line block ×16, first 2 shown]
	ds_read_b128 v[72:75], v67 offset:29696
	;;#ASMSTART
	
             v_fmac_f32 v56, v80, v76 
             
	;;#ASMEND
	;;#ASMSTART
	
             v_fmac_f32 v57, v80, v77 
             
	;;#ASMEND
	;; [unrolled: 5-line block ×16, first 2 shown]
	ds_read_b128 v[76:79], v67 offset:29952
	ds_read_b128 v[80:83], v66 offset:13568
	s_waitcnt lgkmcnt(2)
	;;#ASMSTART
	
             v_fmac_f32 v0, v68, v72 
             
	;;#ASMEND
	;;#ASMSTART
	
             v_fmac_f32 v1, v68, v73 
             
	;;#ASMEND
	;;#ASMSTART
	
             v_fmac_f32 v2, v68, v74 
             
	;;#ASMEND
	;;#ASMSTART
	
             v_fmac_f32 v3, v68, v75 
             
	;;#ASMEND
	;;#ASMSTART
	
             v_fmac_f32 v8, v69, v72 
             
	;;#ASMEND
	;;#ASMSTART
	
             v_fmac_f32 v9, v69, v73 
             
	;;#ASMEND
	;;#ASMSTART
	
             v_fmac_f32 v10, v69, v74 
             
	;;#ASMEND
	;;#ASMSTART
	
             v_fmac_f32 v11, v69, v75 
             
	;;#ASMEND
	;;#ASMSTART
	
             v_fmac_f32 v18, v70, v72 
             
	;;#ASMEND
	;;#ASMSTART
	
             v_fmac_f32 v19, v70, v73 
             
	;;#ASMEND
	;;#ASMSTART
	
             v_fmac_f32 v16, v70, v74 
             
	;;#ASMEND
	;;#ASMSTART
	
             v_fmac_f32 v17, v70, v75 
             
	;;#ASMEND
	;;#ASMSTART
	
             v_fmac_f32 v24, v71, v72 
             
	;;#ASMEND
	;;#ASMSTART
	
             v_fmac_f32 v25, v71, v73 
             
	;;#ASMEND
	;;#ASMSTART
	
             v_fmac_f32 v26, v71, v74 
             
	;;#ASMEND
	;;#ASMSTART
	
             v_fmac_f32 v27, v71, v75 
             
	;;#ASMEND
	s_waitcnt lgkmcnt(1)
	;;#ASMSTART
	
             v_fmac_f32 v4, v68, v76 
             
	;;#ASMEND
	;;#ASMSTART
	
             v_fmac_f32 v5, v68, v77 
             
	;;#ASMEND
	;; [unrolled: 5-line block ×16, first 2 shown]
	ds_read_b128 v[68:71], v66 offset:13824
	s_waitcnt lgkmcnt(1)
	;;#ASMSTART
	
             v_fmac_f32 v46, v80, v72 
             
	;;#ASMEND
	;;#ASMSTART
	
             v_fmac_f32 v47, v80, v73 
             
	;;#ASMEND
	;;#ASMSTART
	
             v_fmac_f32 v50, v80, v74 
             
	;;#ASMEND
	;;#ASMSTART
	
             v_fmac_f32 v51, v80, v75 
             
	;;#ASMEND
	;;#ASMSTART
	
             v_fmac_f32 v40, v81, v72 
             
	;;#ASMEND
	;;#ASMSTART
	
             v_fmac_f32 v41, v81, v73 
             
	;;#ASMEND
	;;#ASMSTART
	
             v_fmac_f32 v42, v81, v74 
             
	;;#ASMEND
	;;#ASMSTART
	
             v_fmac_f32 v43, v81, v75 
             
	;;#ASMEND
	;;#ASMSTART
	
             v_fmac_f32 v34, v82, v72 
             
	;;#ASMEND
	;;#ASMSTART
	
             v_fmac_f32 v35, v82, v73 
             
	;;#ASMEND
	;;#ASMSTART
	
             v_fmac_f32 v36, v82, v74 
             
	;;#ASMEND
	;;#ASMSTART
	
             v_fmac_f32 v37, v82, v75 
             
	;;#ASMEND
	;;#ASMSTART
	
             v_fmac_f32 v30, v83, v72 
             
	;;#ASMEND
	;;#ASMSTART
	
             v_fmac_f32 v31, v83, v73 
             
	;;#ASMEND
	;;#ASMSTART
	
             v_fmac_f32 v32, v83, v74 
             
	;;#ASMEND
	;;#ASMSTART
	
             v_fmac_f32 v33, v83, v75 
             
	;;#ASMEND
	ds_read_b128 v[72:75], v67 offset:30208
	;;#ASMSTART
	
             v_fmac_f32 v56, v80, v76 
             
	;;#ASMEND
	;;#ASMSTART
	
             v_fmac_f32 v57, v80, v77 
             
	;;#ASMEND
	;; [unrolled: 5-line block ×16, first 2 shown]
	ds_read_b128 v[76:79], v67 offset:30464
	ds_read_b128 v[80:83], v66 offset:14080
	s_waitcnt lgkmcnt(2)
	;;#ASMSTART
	
             v_fmac_f32 v0, v68, v72 
             
	;;#ASMEND
	;;#ASMSTART
	
             v_fmac_f32 v1, v68, v73 
             
	;;#ASMEND
	;; [unrolled: 5-line block ×16, first 2 shown]
	s_waitcnt lgkmcnt(1)
	;;#ASMSTART
	
             v_fmac_f32 v4, v68, v76 
             
	;;#ASMEND
	;;#ASMSTART
	
             v_fmac_f32 v5, v68, v77 
             
	;;#ASMEND
	;; [unrolled: 5-line block ×16, first 2 shown]
	ds_read_b128 v[68:71], v66 offset:14336
	s_waitcnt lgkmcnt(1)
	;;#ASMSTART
	
             v_fmac_f32 v46, v80, v72 
             
	;;#ASMEND
	;;#ASMSTART
	
             v_fmac_f32 v47, v80, v73 
             
	;;#ASMEND
	;; [unrolled: 5-line block ×16, first 2 shown]
	ds_read_b128 v[72:75], v67 offset:30720
	;;#ASMSTART
	
             v_fmac_f32 v56, v80, v76 
             
	;;#ASMEND
	;;#ASMSTART
	
             v_fmac_f32 v57, v80, v77 
             
	;;#ASMEND
	;; [unrolled: 5-line block ×16, first 2 shown]
	ds_read_b128 v[76:79], v67 offset:30976
	ds_read_b128 v[80:83], v66 offset:14592
	s_waitcnt lgkmcnt(2)
	;;#ASMSTART
	
             v_fmac_f32 v0, v68, v72 
             
	;;#ASMEND
	;;#ASMSTART
	
             v_fmac_f32 v1, v68, v73 
             
	;;#ASMEND
	;; [unrolled: 5-line block ×16, first 2 shown]
	s_waitcnt lgkmcnt(1)
	;;#ASMSTART
	
             v_fmac_f32 v4, v68, v76 
             
	;;#ASMEND
	;;#ASMSTART
	
             v_fmac_f32 v5, v68, v77 
             
	;;#ASMEND
	;; [unrolled: 5-line block ×16, first 2 shown]
	ds_read_b128 v[68:71], v66 offset:14848
	s_waitcnt lgkmcnt(1)
	;;#ASMSTART
	
             v_fmac_f32 v46, v80, v72 
             
	;;#ASMEND
	;;#ASMSTART
	
             v_fmac_f32 v47, v80, v73 
             
	;;#ASMEND
	;;#ASMSTART
	
             v_fmac_f32 v50, v80, v74 
             
	;;#ASMEND
	;;#ASMSTART
	
             v_fmac_f32 v51, v80, v75 
             
	;;#ASMEND
	;;#ASMSTART
	
             v_fmac_f32 v40, v81, v72 
             
	;;#ASMEND
	;;#ASMSTART
	
             v_fmac_f32 v41, v81, v73 
             
	;;#ASMEND
	;;#ASMSTART
	
             v_fmac_f32 v42, v81, v74 
             
	;;#ASMEND
	;;#ASMSTART
	
             v_fmac_f32 v43, v81, v75 
             
	;;#ASMEND
	;;#ASMSTART
	
             v_fmac_f32 v34, v82, v72 
             
	;;#ASMEND
	;;#ASMSTART
	
             v_fmac_f32 v35, v82, v73 
             
	;;#ASMEND
	;;#ASMSTART
	
             v_fmac_f32 v36, v82, v74 
             
	;;#ASMEND
	;;#ASMSTART
	
             v_fmac_f32 v37, v82, v75 
             
	;;#ASMEND
	;;#ASMSTART
	
             v_fmac_f32 v30, v83, v72 
             
	;;#ASMEND
	;;#ASMSTART
	
             v_fmac_f32 v31, v83, v73 
             
	;;#ASMEND
	;;#ASMSTART
	
             v_fmac_f32 v32, v83, v74 
             
	;;#ASMEND
	;;#ASMSTART
	
             v_fmac_f32 v33, v83, v75 
             
	;;#ASMEND
	ds_read_b128 v[72:75], v67 offset:31232
	;;#ASMSTART
	
             v_fmac_f32 v56, v80, v76 
             
	;;#ASMEND
	;;#ASMSTART
	
             v_fmac_f32 v57, v80, v77 
             
	;;#ASMEND
	;; [unrolled: 5-line block ×16, first 2 shown]
	ds_read_b128 v[76:79], v67 offset:31488
	ds_read_b128 v[80:83], v66 offset:15104
	s_waitcnt lgkmcnt(2)
	;;#ASMSTART
	
             v_fmac_f32 v0, v68, v72 
             
	;;#ASMEND
	;;#ASMSTART
	
             v_fmac_f32 v1, v68, v73 
             
	;;#ASMEND
	;; [unrolled: 5-line block ×16, first 2 shown]
	s_waitcnt lgkmcnt(1)
	;;#ASMSTART
	
             v_fmac_f32 v4, v68, v76 
             
	;;#ASMEND
	;;#ASMSTART
	
             v_fmac_f32 v5, v68, v77 
             
	;;#ASMEND
	;; [unrolled: 5-line block ×16, first 2 shown]
	ds_read_b128 v[68:71], v66 offset:15360
	s_waitcnt lgkmcnt(1)
	;;#ASMSTART
	
             v_fmac_f32 v46, v80, v72 
             
	;;#ASMEND
	;;#ASMSTART
	
             v_fmac_f32 v47, v80, v73 
             
	;;#ASMEND
	;; [unrolled: 5-line block ×16, first 2 shown]
	ds_read_b128 v[72:75], v67 offset:31744
	;;#ASMSTART
	
             v_fmac_f32 v56, v80, v76 
             
	;;#ASMEND
	;;#ASMSTART
	
             v_fmac_f32 v57, v80, v77 
             
	;;#ASMEND
	;; [unrolled: 5-line block ×16, first 2 shown]
	ds_read_b128 v[76:79], v67 offset:32000
	ds_read_b128 v[80:83], v66 offset:15616
	s_waitcnt lgkmcnt(2)
	;;#ASMSTART
	
             v_fmac_f32 v0, v68, v72 
             
	;;#ASMEND
	;;#ASMSTART
	
             v_fmac_f32 v1, v68, v73 
             
	;;#ASMEND
	;;#ASMSTART
	
             v_fmac_f32 v2, v68, v74 
             
	;;#ASMEND
	;;#ASMSTART
	
             v_fmac_f32 v3, v68, v75 
             
	;;#ASMEND
	;;#ASMSTART
	
             v_fmac_f32 v8, v69, v72 
             
	;;#ASMEND
	;;#ASMSTART
	
             v_fmac_f32 v9, v69, v73 
             
	;;#ASMEND
	;;#ASMSTART
	
             v_fmac_f32 v10, v69, v74 
             
	;;#ASMEND
	;;#ASMSTART
	
             v_fmac_f32 v11, v69, v75 
             
	;;#ASMEND
	;;#ASMSTART
	
             v_fmac_f32 v18, v70, v72 
             
	;;#ASMEND
	;;#ASMSTART
	
             v_fmac_f32 v19, v70, v73 
             
	;;#ASMEND
	;;#ASMSTART
	
             v_fmac_f32 v16, v70, v74 
             
	;;#ASMEND
	;;#ASMSTART
	
             v_fmac_f32 v17, v70, v75 
             
	;;#ASMEND
	;;#ASMSTART
	
             v_fmac_f32 v24, v71, v72 
             
	;;#ASMEND
	;;#ASMSTART
	
             v_fmac_f32 v25, v71, v73 
             
	;;#ASMEND
	;;#ASMSTART
	
             v_fmac_f32 v26, v71, v74 
             
	;;#ASMEND
	;;#ASMSTART
	
             v_fmac_f32 v27, v71, v75 
             
	;;#ASMEND
	s_waitcnt lgkmcnt(1)
	;;#ASMSTART
	
             v_fmac_f32 v4, v68, v76 
             
	;;#ASMEND
	;;#ASMSTART
	
             v_fmac_f32 v5, v68, v77 
             
	;;#ASMEND
	;; [unrolled: 5-line block ×16, first 2 shown]
	ds_read_b128 v[68:71], v66 offset:15872
	s_waitcnt lgkmcnt(1)
	;;#ASMSTART
	
             v_fmac_f32 v46, v80, v72 
             
	;;#ASMEND
	;;#ASMSTART
	
             v_fmac_f32 v47, v80, v73 
             
	;;#ASMEND
	;; [unrolled: 5-line block ×16, first 2 shown]
	ds_read_b128 v[72:75], v67 offset:32256
	;;#ASMSTART
	
             v_fmac_f32 v56, v80, v76 
             
	;;#ASMEND
	;;#ASMSTART
	
             v_fmac_f32 v57, v80, v77 
             
	;;#ASMEND
	;; [unrolled: 5-line block ×16, first 2 shown]
	ds_read_b128 v[76:79], v67 offset:32512
	ds_read_b128 v[80:83], v66 offset:16128
	v_mul_lo_u32 v66, v65, s30
	s_waitcnt lgkmcnt(2)
	;;#ASMSTART
	
             v_fmac_f32 v0, v68, v72 
             
	;;#ASMEND
	;;#ASMSTART
	
             v_fmac_f32 v1, v68, v73 
             
	;;#ASMEND
	;; [unrolled: 5-line block ×16, first 2 shown]
	s_waitcnt lgkmcnt(1)
	;;#ASMSTART
	
             v_fmac_f32 v4, v68, v76 
             
	;;#ASMEND
	;;#ASMSTART
	
             v_fmac_f32 v5, v68, v77 
             
	;;#ASMEND
	;; [unrolled: 5-line block ×16, first 2 shown]
	s_waitcnt lgkmcnt(0)
	;;#ASMSTART
	
             v_fmac_f32 v46, v80, v72 
             
	;;#ASMEND
	;;#ASMSTART
	
             v_fmac_f32 v47, v80, v73 
             
	;;#ASMEND
	;; [unrolled: 5-line block ×16, first 2 shown]
	v_mad_u64_u32 v[74:75], s[2:3], v64, s31, v[66:67]
	s_lshl_b32 s50, s0, 2
	v_lshlrev_b32_e32 v66, 2, v74
	;;#ASMSTART
	
             v_fmac_f32 v56, v80, v76 
             
	;;#ASMEND
	;;#ASMSTART
	
             v_fmac_f32 v57, v80, v77 
             
	;;#ASMEND
	;; [unrolled: 5-line block ×16, first 2 shown]
	buffer_load_dwordx4 v[66:69], v66, s[48:51], 0 offen
	s_lshl_b32 s12, s31, 6
	v_add_lshl_u32 v70, v74, s12, 2
	buffer_load_dwordx4 v[70:73], v70, s[48:51], 0 offen
	v_add_u32_e32 v82, s30, v74
	v_lshlrev_b32_e32 v74, 2, v82
	buffer_load_dwordx4 v[74:77], v74, s[48:51], 0 offen
	s_load_dword s4, s[4:5], 0x1e8
	v_add_lshl_u32 v78, v82, s12, 2
	buffer_load_dwordx4 v[78:81], v78, s[48:51], 0 offen
	v_add_u32_e32 v90, s30, v82
	v_lshlrev_b32_e32 v82, 2, v90
	buffer_load_dwordx4 v[82:85], v82, s[48:51], 0 offen
	s_waitcnt lgkmcnt(0)
	v_cmp_gt_i32_e32 vcc, s4, v64
	v_cmp_gt_i32_e64 s[2:3], s23, v65
	v_add_lshl_u32 v86, v90, s12, 2
	buffer_load_dwordx4 v[86:89], v86, s[48:51], 0 offen
	s_and_b64 s[0:1], s[2:3], vcc
	v_add_u32_e32 v100, 64, v64
	v_add_u32_e32 v90, s30, v90
	v_or_b32_e32 v101, 1, v65
	s_mov_b32 s31, s11
	s_waitcnt vmcnt(5)
	v_cndmask_b32_e64 v69, 0, v69, s[0:1]
	v_cndmask_b32_e64 v68, 0, v68, s[0:1]
	v_cndmask_b32_e64 v67, 0, v67, s[0:1]
	v_cndmask_b32_e64 v66, 0, v66, s[0:1]
	v_cmp_gt_i32_e64 s[0:1], s4, v100
	v_pk_add_f32 v[0:1], v[0:1], v[66:67]
	v_lshlrev_b32_e32 v66, 2, v90
	s_and_b64 s[2:3], s[2:3], s[0:1]
	v_pk_add_f32 v[2:3], v[2:3], v[68:69]
	buffer_load_dwordx4 v[66:69], v66, s[48:51], 0 offen
	s_waitcnt vmcnt(5)
	v_cndmask_b32_e64 v73, 0, v73, s[2:3]
	v_cndmask_b32_e64 v72, 0, v72, s[2:3]
	;; [unrolled: 1-line block ×4, first 2 shown]
	v_cmp_gt_i32_e64 s[2:3], s23, v101
	v_pk_add_f32 v[4:5], v[4:5], v[70:71]
	v_add_lshl_u32 v70, v90, s12, 2
	s_and_b64 s[4:5], s[2:3], vcc
	v_pk_add_f32 v[6:7], v[6:7], v[72:73]
	buffer_load_dwordx4 v[70:73], v70, s[48:51], 0 offen
	s_waitcnt vmcnt(5)
	v_cndmask_b32_e64 v77, 0, v77, s[4:5]
	v_cndmask_b32_e64 v76, 0, v76, s[4:5]
	;; [unrolled: 1-line block ×4, first 2 shown]
	v_mad_u64_u32 v[90:91], s[4:5], s30, 61, v[90:91]
	v_pk_add_f32 v[8:9], v[8:9], v[74:75]
	v_lshlrev_b32_e32 v74, 2, v90
	v_pk_add_f32 v[10:11], v[10:11], v[76:77]
	buffer_load_dwordx4 v[74:77], v74, s[48:51], 0 offen
	s_and_b64 s[2:3], s[2:3], s[0:1]
	s_waitcnt vmcnt(5)
	v_cndmask_b32_e64 v79, 0, v79, s[2:3]
	v_cndmask_b32_e64 v78, 0, v78, s[2:3]
	;; [unrolled: 1-line block ×4, first 2 shown]
	v_pk_add_f32 v[12:13], v[12:13], v[78:79]
	v_add_lshl_u32 v78, v90, s12, 2
	v_cmp_gt_i32_e64 s[2:3], s23, v102
	v_pk_add_f32 v[14:15], v[14:15], v[80:81]
	buffer_load_dwordx4 v[78:81], v78, s[48:51], 0 offen
	s_and_b64 s[4:5], s[2:3], vcc
	s_waitcnt vmcnt(5)
	v_cndmask_b32_e64 v83, 0, v83, s[4:5]
	v_cndmask_b32_e64 v82, 0, v82, s[4:5]
	v_add_u32_e32 v96, s30, v90
	v_cndmask_b32_e64 v93, 0, v85, s[4:5]
	v_cndmask_b32_e64 v92, 0, v84, s[4:5]
	v_pk_add_f32 v[94:95], v[18:19], v[82:83]
	v_lshlrev_b32_e32 v18, 2, v96
	s_and_b64 s[2:3], s[2:3], s[0:1]
	buffer_load_dwordx4 v[82:85], v18, s[48:51], 0 offen
	v_pk_add_f32 v[16:17], v[16:17], v[92:93]
	s_waitcnt vmcnt(5)
	v_cndmask_b32_e64 v93, 0, v89, s[2:3]
	v_cndmask_b32_e64 v92, 0, v88, s[2:3]
	v_cndmask_b32_e64 v87, 0, v87, s[2:3]
	v_add_lshl_u32 v88, v96, s12, 2
	v_cndmask_b32_e64 v86, 0, v86, s[2:3]
	v_cmp_gt_i32_e64 s[2:3], s23, v103
	buffer_load_dwordx4 v[88:91], v88, s[48:51], 0 offen
	v_pk_add_f32 v[20:21], v[20:21], v[86:87]
	v_add_u32_e32 v86, s30, v96
	s_and_b64 s[4:5], s[2:3], vcc
	v_lshlrev_b32_e32 v87, 2, v86
	v_max_f32_e32 v19, 0, v17
	v_max_f32_e32 v18, 0, v16
	;; [unrolled: 1-line block ×4, first 2 shown]
	v_pk_add_f32 v[22:23], v[22:23], v[92:93]
	buffer_load_dwordx4 v[92:95], v87, s[48:51], 0 offen
	s_and_b64 s[2:3], s[2:3], s[0:1]
	v_add_u32_e32 v98, s30, v86
	v_max_f32_e32 v3, 0, v3
	v_max_f32_e32 v2, 0, v2
	;; [unrolled: 1-line block ×4, first 2 shown]
	s_lshl_b32 s30, s10, 2
	s_lshl_b32 s10, s7, 6
	v_max_f32_e32 v7, 0, v7
	v_max_f32_e32 v6, 0, v6
	;; [unrolled: 1-line block ×13, first 2 shown]
	s_waitcnt vmcnt(6)
	v_cndmask_b32_e64 v67, 0, v67, s[4:5]
	v_cndmask_b32_e64 v66, 0, v66, s[4:5]
	;; [unrolled: 1-line block ×4, first 2 shown]
	v_pk_add_f32 v[24:25], v[24:25], v[66:67]
	v_add_lshl_u32 v66, v86, s12, 2
	v_pk_add_f32 v[26:27], v[26:27], v[68:69]
	buffer_load_dwordx4 v[66:69], v66, s[48:51], 0 offen
	v_max_f32_e32 v22, 0, v22
	v_max_f32_e32 v21, 0, v21
	s_waitcnt vmcnt(6)
	v_cndmask_b32_e64 v73, 0, v73, s[2:3]
	v_cndmask_b32_e64 v72, 0, v72, s[2:3]
	v_cndmask_b32_e64 v71, 0, v71, s[2:3]
	v_cndmask_b32_e64 v70, 0, v70, s[2:3]
	v_cmp_gt_i32_e64 s[2:3], s23, v104
	v_pk_add_f32 v[60:61], v[60:61], v[70:71]
	v_lshlrev_b32_e32 v70, 2, v98
	s_and_b64 s[4:5], s[2:3], vcc
	v_pk_add_f32 v[62:63], v[62:63], v[72:73]
	buffer_load_dwordx4 v[70:73], v70, s[48:51], 0 offen
	s_waitcnt vmcnt(6)
	v_cndmask_b32_e64 v96, 0, v74, s[4:5]
	v_add_lshl_u32 v74, v98, s12, 2
	v_cndmask_b32_e64 v87, 0, v77, s[4:5]
	v_cndmask_b32_e64 v86, 0, v76, s[4:5]
	;; [unrolled: 1-line block ×3, first 2 shown]
	buffer_load_dwordx4 v[74:77], v74, s[48:51], 0 offen
	v_pk_add_f32 v[50:51], v[50:51], v[86:87]
	s_and_b64 s[2:3], s[2:3], s[0:1]
	v_pk_add_f32 v[46:47], v[46:47], v[96:97]
	v_max_f32_e32 v98, 0, v50
	s_waitcnt vmcnt(6)
	v_cndmask_b32_e64 v50, 0, v78, s[2:3]
	v_add_u32_e32 v78, 0x41, v65
	v_max_f32_e32 v99, 0, v51
	v_max_f32_e32 v97, 0, v47
	;; [unrolled: 1-line block ×3, first 2 shown]
	v_cndmask_b32_e64 v47, 0, v81, s[2:3]
	v_cndmask_b32_e64 v46, 0, v80, s[2:3]
	;; [unrolled: 1-line block ×3, first 2 shown]
	v_cmp_gt_i32_e64 s[2:3], s23, v78
	v_pk_add_f32 v[50:51], v[56:57], v[50:51]
	v_pk_add_f32 v[46:47], v[58:59], v[46:47]
	s_and_b64 s[4:5], s[2:3], vcc
	v_max_f32_e32 v59, 0, v47
	v_max_f32_e32 v58, 0, v46
	;; [unrolled: 1-line block ×4, first 2 shown]
	s_waitcnt vmcnt(5)
	v_cndmask_b32_e64 v47, 0, v85, s[4:5]
	v_cndmask_b32_e64 v46, 0, v84, s[4:5]
	;; [unrolled: 1-line block ×4, first 2 shown]
	s_and_b64 s[2:3], s[2:3], s[0:1]
	v_add_u32_e32 v79, 0x42, v65
	v_pk_add_f32 v[40:41], v[40:41], v[50:51]
	v_pk_add_f32 v[42:43], v[42:43], v[46:47]
	s_waitcnt vmcnt(4)
	v_cndmask_b32_e64 v47, 0, v91, s[2:3]
	v_cndmask_b32_e64 v46, 0, v90, s[2:3]
	v_cndmask_b32_e64 v51, 0, v89, s[2:3]
	v_cndmask_b32_e64 v50, 0, v88, s[2:3]
	v_cmp_gt_i32_e64 s[2:3], s23, v79
	v_pk_add_f32 v[46:47], v[54:55], v[46:47]
	s_and_b64 s[4:5], s[2:3], vcc
	v_pk_add_f32 v[50:51], v[52:53], v[50:51]
	v_max_f32_e32 v53, 0, v47
	v_max_f32_e32 v52, 0, v46
	s_waitcnt vmcnt(3)
	v_cndmask_b32_e64 v47, 0, v95, s[4:5]
	v_cndmask_b32_e64 v46, 0, v94, s[4:5]
	;; [unrolled: 1-line block ×4, first 2 shown]
	s_and_b64 s[2:3], s[2:3], s[0:1]
	v_add_u32_e32 v80, 0x43, v65
	v_pk_add_f32 v[34:35], v[34:35], v[54:55]
	v_pk_add_f32 v[36:37], v[36:37], v[46:47]
	v_max_f32_e32 v20, 0, v20
	v_max_f32_e32 v63, 0, v63
	;; [unrolled: 1-line block ×15, first 2 shown]
	s_waitcnt vmcnt(2)
	v_cndmask_b32_e64 v47, 0, v69, s[2:3]
	v_cndmask_b32_e64 v46, 0, v68, s[2:3]
	;; [unrolled: 1-line block ×4, first 2 shown]
	v_cmp_gt_i32_e64 s[2:3], s23, v80
	s_and_b64 vcc, s[2:3], vcc
	v_pk_add_f32 v[44:45], v[44:45], v[54:55]
	v_pk_add_f32 v[46:47], v[48:49], v[46:47]
	v_max_f32_e32 v47, 0, v47
	v_max_f32_e32 v46, 0, v46
	;; [unrolled: 1-line block ×4, first 2 shown]
	s_waitcnt vmcnt(1)
	v_cndmask_b32_e32 v49, 0, v73, vcc
	v_cndmask_b32_e32 v48, 0, v72, vcc
	;; [unrolled: 1-line block ×4, first 2 shown]
	s_and_b64 vcc, s[2:3], s[0:1]
	v_pk_add_f32 v[32:33], v[32:33], v[48:49]
	s_waitcnt vmcnt(0)
	v_cndmask_b32_e32 v49, 0, v77, vcc
	v_cndmask_b32_e32 v48, 0, v76, vcc
	v_pk_add_f32 v[28:29], v[28:29], v[48:49]
	v_max_f32_e32 v68, 0, v28
	v_mul_lo_u32 v28, v65, s6
	v_max_f32_e32 v69, 0, v29
	v_mad_u64_u32 v[28:29], s[0:1], v64, s7, v[28:29]
	v_pk_add_f32 v[30:31], v[30:31], v[54:55]
	v_cndmask_b32_e32 v55, 0, v75, vcc
	v_cndmask_b32_e32 v54, 0, v74, vcc
	v_cmp_gt_i32_e32 vcc, s9, v64
	v_cmp_gt_i32_e64 s[0:1], s8, v65
	v_pk_add_f32 v[38:39], v[38:39], v[54:55]
	v_bfrev_b32_e32 v29, 1
	s_and_b64 s[2:3], s[0:1], vcc
	v_max_f32_e32 v66, 0, v38
	v_cndmask_b32_e64 v38, v29, 0, s[2:3]
	v_cmp_gt_i32_e64 s[2:3], s9, v100
	v_lshl_add_u32 v38, v28, 2, v38
	s_and_b64 s[0:1], s[0:1], s[2:3]
	buffer_store_dwordx4 v[0:3], v38, s[28:31], 0 offen
	s_lshl_b32 s9, s6, 8
	v_add_u32_e32 v0, s10, v28
	v_cndmask_b32_e64 v1, v29, 0, s[0:1]
	v_cmp_gt_i32_e64 s[0:1], s8, v101
	v_lshl_add_u32 v1, v0, 2, v1
	s_and_b64 s[4:5], s[0:1], s[2:3]
	buffer_store_dwordx4 v[4:7], v1, s[28:31], 0 offen
	v_add_u32_e32 v0, s6, v0
	v_cndmask_b32_e64 v1, v29, 0, s[4:5]
	v_lshl_add_u32 v1, v0, 2, v1
	s_and_b64 s[0:1], s[0:1], vcc
	buffer_store_dwordx4 v[12:15], v1, s[28:31], 0 offen
	v_add_u32_e32 v1, s6, v28
	v_cndmask_b32_e64 v2, v29, 0, s[0:1]
	v_cmp_gt_i32_e64 s[0:1], s8, v102
	v_lshl_add_u32 v2, v1, 2, v2
	s_and_b64 s[4:5], s[0:1], vcc
	buffer_store_dwordx4 v[8:11], v2, s[28:31], 0 offen
	v_add_u32_e32 v1, s6, v1
	v_cndmask_b32_e64 v2, v29, 0, s[4:5]
	v_lshl_add_u32 v1, v1, 2, v2
	s_and_b64 s[0:1], s[0:1], s[2:3]
	buffer_store_dwordx4 v[16:19], v1, s[28:31], 0 offen
	v_add_u32_e32 v0, s6, v0
	v_cndmask_b32_e64 v1, v29, 0, s[0:1]
	v_cmp_gt_i32_e64 s[0:1], s8, v103
	v_lshl_add_u32 v1, v0, 2, v1
	s_and_b64 s[4:5], s[0:1], s[2:3]
	buffer_store_dwordx4 v[20:23], v1, s[28:31], 0 offen
	v_add_u32_e32 v0, s6, v0
	v_cndmask_b32_e64 v1, v29, 0, s[4:5]
	v_lshl_add_u32 v1, v0, 2, v1
	v_subrev_u32_e32 v0, s10, v0
	s_and_b64 s[0:1], s[0:1], vcc
	buffer_store_dwordx4 v[60:63], v1, s[28:31], 0 offen
	v_lshlrev_b32_e32 v1, 2, v0
	v_cndmask_b32_e64 v2, v29, 0, s[0:1]
	v_cmp_gt_i32_e64 s[0:1], s8, v80
	v_add_u32_e32 v2, v1, v2
	s_and_b64 s[4:5], s[0:1], vcc
	buffer_store_dwordx4 v[24:27], v2, s[28:31], 0 offen
	v_cndmask_b32_e64 v2, v29, 0, s[4:5]
	v_max_f32_e32 v33, 0, v33
	v_max_f32_e32 v32, 0, v32
	;; [unrolled: 1-line block ×4, first 2 shown]
	v_add3_u32 v1, v2, s9, v1
	s_add_i32 s4, s7, s6
	s_and_b64 s[0:1], s[0:1], s[2:3]
	buffer_store_dwordx4 v[30:33], v1, s[28:31], 0 offen
	v_lshl_add_u32 v0, s4, 6, v0
	v_cndmask_b32_e64 v1, v29, 0, s[0:1]
	v_cmp_ge_i32_e64 s[0:1], s8, v80
	v_max_f32_e32 v67, 0, v39
	v_lshl_add_u32 v1, v0, 2, v1
	s_and_b64 s[0:1], s[0:1], s[2:3]
	buffer_store_dwordx4 v[66:69], v1, s[28:31], 0 offen
	v_subrev_u32_e32 v0, s6, v0
	v_cndmask_b32_e64 v1, v29, 0, s[0:1]
	v_cmp_gt_i32_e64 s[0:1], s8, v79
	v_lshl_add_u32 v1, v0, 2, v1
	s_and_b64 s[0:1], s[0:1], vcc
	buffer_store_dwordx4 v[44:47], v1, s[28:31], 0 offen
	v_subrev_u32_e32 v0, s10, v0
	v_cndmask_b32_e64 v1, v29, 0, s[0:1]
	v_cmp_ge_i32_e64 s[0:1], s8, v79
	v_lshl_add_u32 v1, v0, 2, v1
	s_and_b64 s[0:1], s[0:1], vcc
	buffer_store_dwordx4 v[34:37], v1, s[28:31], 0 offen
	v_subrev_u32_e32 v0, s6, v0
	v_cndmask_b32_e64 v1, v29, 0, s[0:1]
	v_cmp_gt_i32_e64 s[0:1], s8, v78
	v_max_f32_e32 v41, 0, v41
	v_max_f32_e32 v40, 0, v40
	v_lshl_add_u32 v1, v0, 2, v1
	s_and_b64 s[0:1], s[0:1], s[2:3]
	buffer_store_dwordx4 v[40:43], v1, s[28:31], 0 offen
	v_add_u32_e32 v0, s10, v0
	v_cndmask_b32_e64 v1, v29, 0, s[0:1]
	v_cmp_ge_i32_e64 s[0:1], s8, v78
	v_max_f32_e32 v51, 0, v51
	v_max_f32_e32 v50, 0, v50
	v_lshl_add_u32 v1, v0, 2, v1
	v_subrev_u32_e32 v0, s6, v0
	s_and_b64 s[0:1], s[0:1], s[2:3]
	buffer_store_dwordx4 v[50:53], v1, s[28:31], 0 offen
	v_lshlrev_b32_e32 v0, 2, v0
	v_cndmask_b32_e64 v1, v29, 0, s[0:1]
	v_cmp_gt_i32_e64 s[0:1], s8, v104
	v_add_u32_e32 v1, v0, v1
	s_and_b64 s[0:1], s[0:1], vcc
	buffer_store_dwordx4 v[56:59], v1, s[28:31], 0 offen
	v_cndmask_b32_e64 v1, v29, 0, s[0:1]
	s_lshl_b32 s0, s7, 8
	v_subrev_u32_e32 v1, s0, v1
	v_add_u32_e32 v0, v1, v0
	buffer_store_dwordx4 v[96:99], v0, s[28:31], 0 offen
	s_endpgm
	.section	.rodata,"a",@progbits
	.p2align	6, 0x0
	.amdhsa_kernel _ZN2ck16tensor_operation6device12_GLOBAL__N_137kernel_grouped_conv_fwd_dl_multiple_dINS_32GridwiseGemmDlMultipleD_km_kn_mnILi256EffNS_5TupleIJfEEEfNS0_12element_wise11PassThroughES8_NS7_7AddReluELNS_25InMemoryDataOperationEnumE0ENS_16TensorDescriptorINS5_IJNS_5EmbedINS5_IJiiiiiEEESD_Lb0EEENS_11PassThroughIiEENS_3PadIiiiLb0EEESI_SI_SG_SG_NSC_INS5_IJiiEEESJ_Lb0EEESK_SK_SG_NS_23Merge_v2_magic_divisionINS5_IJiiiiEEEEESN_NS_8RightPadIiiLb0EEESP_NS_7UnMergeISJ_Lb0EEESG_EEENS5_IJNS_8SequenceIJLi0EEEENST_IJLi1EEEENST_IJLi2EEEENST_IJLi3EEEENST_IJLi4EEEENST_IJLi5EEEENST_IJLi6EEEENST_IJLi7EEEENST_IJLi8EEEENST_IJLi9EEEENST_IJLi10EEEENST_IJLi11ELi13ELi15ELi17EEEENST_IJLi12ELi14ELi16ELi18EEEENST_IJLi19EEEENST_IJLi20EEEENST_IJLi22EEEENST_IJLi21EEEEEEENS5_IJNST_IJLi1ELi2ELi3ELi4ELi5EEEES10_S11_S12_S13_S14_NST_IJLi11EEEENST_IJLi12ELi13EEEENST_IJLi14ELi15EEEENST_IJLi16ELi17EEEENST_IJLi18EEEES17_S18_S1A_S19_NST_IJLi23ELi24EEEENST_IJLi25EEEEEEENST_IJLi23ELi25ELi24EEEElEENSB_INS5_IJSR_SP_SP_SR_SG_EEENS5_IJSU_SV_SW_SY_SX_EEENS5_IJNST_IJLi1ELi2EEEESX_SY_NST_IJLi5ELi6EEEES11_EEENST_IJLi5ELi7ELi6EEEElEENSB_INS5_IJSK_SP_SP_EEENS5_IJSU_SV_SW_EEENS5_IJS1P_SX_SY_EEENST_IJLi3ELi4EEEElEELi128ELi128ELi16ELi1ELi4ELi4ELi1ENST_IJLi8ELi2EEEES1Z_NST_IJLi8ELi1ELi1ELi1EEEENST_IJLi2ELi1ELi128ELi1EEEENST_IJLi1ELi2ELi0ELi3EEEES22_NST_IJLi4ELi1ELi1ELi1EEEES22_NST_IJLi1ELi1ELi1ELi1EEEES20_S21_S22_S22_S23_S22_S24_NST_IJLi0ELi1ELi2ELi3ELi4ELi5EEEELi5ELi4EEEfNS5_IJPKfEEEfS8_S8_S9_NSB_INS5_IJSE_SG_SI_SI_SI_SG_SG_SK_SK_SK_SG_SN_SN_SP_SP_SR_SG_SG_NSQ_INS5_IJiNS_17integral_constantIiLi128EEEEEELb0EEENSF_INS2A_IiLi1EEEEEEEENS5_IJSU_SV_SW_SX_SY_SZ_S10_S11_S12_S13_S14_S15_S16_S17_S18_S19_S1A_NST_IJLi23EEEES1J_NST_IJLi24EEEEEEENS5_IJS1C_S10_S11_S12_S13_S14_S1D_S1E_S1F_S1G_S1H_S17_S18_S1A_S19_S1I_S1J_NST_IJLi26EEEENST_IJLi27ELi28EEEENST_IJLi29EEEEEEENST_IJLi26ELi27ELi28ELi29EEEElEENSB_INS5_IJSR_SP_SP_SR_SG_SG_S2D_S2F_EEENS5_IJSU_SV_SW_SY_SX_SZ_S11_S10_EEENS5_IJS1P_SX_SY_S1Q_S11_S12_NST_IJLi9ELi10EEEES1D_EEENST_IJLi8ELi9ELi10ELi11EEEElEENS5_IJNSB_INS5_IJSK_SP_SP_NSQ_INS5_IJiNS2A_IiLi2EEENS2A_IiLi64EEEEEELb0EEES2Z_EEENS5_IJSU_SV_SW_SX_SY_EEENS5_IJS1P_SX_SY_NST_IJLi5ELi6ELi7EEEENST_IJLi8ELi9ELi10EEEEEEENST_IJLi5ELi6ELi7ELi8ELi9ELi10EEEElEEEEES36_NS_31BlockToCTileMap_M00_N00_M01_N01ILi128ELi128ES1Y_Lb0EEENS1_30ComputePtrOffsetOfStridedBatchILi1ELi1ELi1EvEELb0ELb1EEEvPKT0_S3E_T1_PT2_T3_T4_T5_iT6_T7_T8_T9_T10_T11_
		.amdhsa_group_segment_fixed_size 32768
		.amdhsa_private_segment_fixed_size 0
		.amdhsa_kernarg_size 1024
		.amdhsa_user_sgpr_count 6
		.amdhsa_user_sgpr_private_segment_buffer 1
		.amdhsa_user_sgpr_dispatch_ptr 0
		.amdhsa_user_sgpr_queue_ptr 0
		.amdhsa_user_sgpr_kernarg_segment_ptr 1
		.amdhsa_user_sgpr_dispatch_id 0
		.amdhsa_user_sgpr_flat_scratch_init 0
		.amdhsa_user_sgpr_kernarg_preload_length 0
		.amdhsa_user_sgpr_kernarg_preload_offset 0
		.amdhsa_user_sgpr_private_segment_size 0
		.amdhsa_uses_dynamic_stack 0
		.amdhsa_system_sgpr_private_segment_wavefront_offset 0
		.amdhsa_system_sgpr_workgroup_id_x 1
		.amdhsa_system_sgpr_workgroup_id_y 0
		.amdhsa_system_sgpr_workgroup_id_z 0
		.amdhsa_system_sgpr_workgroup_info 0
		.amdhsa_system_vgpr_workitem_id 0
		.amdhsa_next_free_vgpr 105
		.amdhsa_next_free_sgpr 85
		.amdhsa_accum_offset 108
		.amdhsa_reserve_vcc 1
		.amdhsa_reserve_flat_scratch 0
		.amdhsa_float_round_mode_32 0
		.amdhsa_float_round_mode_16_64 0
		.amdhsa_float_denorm_mode_32 3
		.amdhsa_float_denorm_mode_16_64 3
		.amdhsa_dx10_clamp 1
		.amdhsa_ieee_mode 1
		.amdhsa_fp16_overflow 0
		.amdhsa_tg_split 0
		.amdhsa_exception_fp_ieee_invalid_op 0
		.amdhsa_exception_fp_denorm_src 0
		.amdhsa_exception_fp_ieee_div_zero 0
		.amdhsa_exception_fp_ieee_overflow 0
		.amdhsa_exception_fp_ieee_underflow 0
		.amdhsa_exception_fp_ieee_inexact 0
		.amdhsa_exception_int_div_zero 0
	.end_amdhsa_kernel
	.section	.text._ZN2ck16tensor_operation6device12_GLOBAL__N_137kernel_grouped_conv_fwd_dl_multiple_dINS_32GridwiseGemmDlMultipleD_km_kn_mnILi256EffNS_5TupleIJfEEEfNS0_12element_wise11PassThroughES8_NS7_7AddReluELNS_25InMemoryDataOperationEnumE0ENS_16TensorDescriptorINS5_IJNS_5EmbedINS5_IJiiiiiEEESD_Lb0EEENS_11PassThroughIiEENS_3PadIiiiLb0EEESI_SI_SG_SG_NSC_INS5_IJiiEEESJ_Lb0EEESK_SK_SG_NS_23Merge_v2_magic_divisionINS5_IJiiiiEEEEESN_NS_8RightPadIiiLb0EEESP_NS_7UnMergeISJ_Lb0EEESG_EEENS5_IJNS_8SequenceIJLi0EEEENST_IJLi1EEEENST_IJLi2EEEENST_IJLi3EEEENST_IJLi4EEEENST_IJLi5EEEENST_IJLi6EEEENST_IJLi7EEEENST_IJLi8EEEENST_IJLi9EEEENST_IJLi10EEEENST_IJLi11ELi13ELi15ELi17EEEENST_IJLi12ELi14ELi16ELi18EEEENST_IJLi19EEEENST_IJLi20EEEENST_IJLi22EEEENST_IJLi21EEEEEEENS5_IJNST_IJLi1ELi2ELi3ELi4ELi5EEEES10_S11_S12_S13_S14_NST_IJLi11EEEENST_IJLi12ELi13EEEENST_IJLi14ELi15EEEENST_IJLi16ELi17EEEENST_IJLi18EEEES17_S18_S1A_S19_NST_IJLi23ELi24EEEENST_IJLi25EEEEEEENST_IJLi23ELi25ELi24EEEElEENSB_INS5_IJSR_SP_SP_SR_SG_EEENS5_IJSU_SV_SW_SY_SX_EEENS5_IJNST_IJLi1ELi2EEEESX_SY_NST_IJLi5ELi6EEEES11_EEENST_IJLi5ELi7ELi6EEEElEENSB_INS5_IJSK_SP_SP_EEENS5_IJSU_SV_SW_EEENS5_IJS1P_SX_SY_EEENST_IJLi3ELi4EEEElEELi128ELi128ELi16ELi1ELi4ELi4ELi1ENST_IJLi8ELi2EEEES1Z_NST_IJLi8ELi1ELi1ELi1EEEENST_IJLi2ELi1ELi128ELi1EEEENST_IJLi1ELi2ELi0ELi3EEEES22_NST_IJLi4ELi1ELi1ELi1EEEES22_NST_IJLi1ELi1ELi1ELi1EEEES20_S21_S22_S22_S23_S22_S24_NST_IJLi0ELi1ELi2ELi3ELi4ELi5EEEELi5ELi4EEEfNS5_IJPKfEEEfS8_S8_S9_NSB_INS5_IJSE_SG_SI_SI_SI_SG_SG_SK_SK_SK_SG_SN_SN_SP_SP_SR_SG_SG_NSQ_INS5_IJiNS_17integral_constantIiLi128EEEEEELb0EEENSF_INS2A_IiLi1EEEEEEEENS5_IJSU_SV_SW_SX_SY_SZ_S10_S11_S12_S13_S14_S15_S16_S17_S18_S19_S1A_NST_IJLi23EEEES1J_NST_IJLi24EEEEEEENS5_IJS1C_S10_S11_S12_S13_S14_S1D_S1E_S1F_S1G_S1H_S17_S18_S1A_S19_S1I_S1J_NST_IJLi26EEEENST_IJLi27ELi28EEEENST_IJLi29EEEEEEENST_IJLi26ELi27ELi28ELi29EEEElEENSB_INS5_IJSR_SP_SP_SR_SG_SG_S2D_S2F_EEENS5_IJSU_SV_SW_SY_SX_SZ_S11_S10_EEENS5_IJS1P_SX_SY_S1Q_S11_S12_NST_IJLi9ELi10EEEES1D_EEENST_IJLi8ELi9ELi10ELi11EEEElEENS5_IJNSB_INS5_IJSK_SP_SP_NSQ_INS5_IJiNS2A_IiLi2EEENS2A_IiLi64EEEEEELb0EEES2Z_EEENS5_IJSU_SV_SW_SX_SY_EEENS5_IJS1P_SX_SY_NST_IJLi5ELi6ELi7EEEENST_IJLi8ELi9ELi10EEEEEEENST_IJLi5ELi6ELi7ELi8ELi9ELi10EEEElEEEEES36_NS_31BlockToCTileMap_M00_N00_M01_N01ILi128ELi128ES1Y_Lb0EEENS1_30ComputePtrOffsetOfStridedBatchILi1ELi1ELi1EvEELb0ELb1EEEvPKT0_S3E_T1_PT2_T3_T4_T5_iT6_T7_T8_T9_T10_T11_,"axG",@progbits,_ZN2ck16tensor_operation6device12_GLOBAL__N_137kernel_grouped_conv_fwd_dl_multiple_dINS_32GridwiseGemmDlMultipleD_km_kn_mnILi256EffNS_5TupleIJfEEEfNS0_12element_wise11PassThroughES8_NS7_7AddReluELNS_25InMemoryDataOperationEnumE0ENS_16TensorDescriptorINS5_IJNS_5EmbedINS5_IJiiiiiEEESD_Lb0EEENS_11PassThroughIiEENS_3PadIiiiLb0EEESI_SI_SG_SG_NSC_INS5_IJiiEEESJ_Lb0EEESK_SK_SG_NS_23Merge_v2_magic_divisionINS5_IJiiiiEEEEESN_NS_8RightPadIiiLb0EEESP_NS_7UnMergeISJ_Lb0EEESG_EEENS5_IJNS_8SequenceIJLi0EEEENST_IJLi1EEEENST_IJLi2EEEENST_IJLi3EEEENST_IJLi4EEEENST_IJLi5EEEENST_IJLi6EEEENST_IJLi7EEEENST_IJLi8EEEENST_IJLi9EEEENST_IJLi10EEEENST_IJLi11ELi13ELi15ELi17EEEENST_IJLi12ELi14ELi16ELi18EEEENST_IJLi19EEEENST_IJLi20EEEENST_IJLi22EEEENST_IJLi21EEEEEEENS5_IJNST_IJLi1ELi2ELi3ELi4ELi5EEEES10_S11_S12_S13_S14_NST_IJLi11EEEENST_IJLi12ELi13EEEENST_IJLi14ELi15EEEENST_IJLi16ELi17EEEENST_IJLi18EEEES17_S18_S1A_S19_NST_IJLi23ELi24EEEENST_IJLi25EEEEEEENST_IJLi23ELi25ELi24EEEElEENSB_INS5_IJSR_SP_SP_SR_SG_EEENS5_IJSU_SV_SW_SY_SX_EEENS5_IJNST_IJLi1ELi2EEEESX_SY_NST_IJLi5ELi6EEEES11_EEENST_IJLi5ELi7ELi6EEEElEENSB_INS5_IJSK_SP_SP_EEENS5_IJSU_SV_SW_EEENS5_IJS1P_SX_SY_EEENST_IJLi3ELi4EEEElEELi128ELi128ELi16ELi1ELi4ELi4ELi1ENST_IJLi8ELi2EEEES1Z_NST_IJLi8ELi1ELi1ELi1EEEENST_IJLi2ELi1ELi128ELi1EEEENST_IJLi1ELi2ELi0ELi3EEEES22_NST_IJLi4ELi1ELi1ELi1EEEES22_NST_IJLi1ELi1ELi1ELi1EEEES20_S21_S22_S22_S23_S22_S24_NST_IJLi0ELi1ELi2ELi3ELi4ELi5EEEELi5ELi4EEEfNS5_IJPKfEEEfS8_S8_S9_NSB_INS5_IJSE_SG_SI_SI_SI_SG_SG_SK_SK_SK_SG_SN_SN_SP_SP_SR_SG_SG_NSQ_INS5_IJiNS_17integral_constantIiLi128EEEEEELb0EEENSF_INS2A_IiLi1EEEEEEEENS5_IJSU_SV_SW_SX_SY_SZ_S10_S11_S12_S13_S14_S15_S16_S17_S18_S19_S1A_NST_IJLi23EEEES1J_NST_IJLi24EEEEEEENS5_IJS1C_S10_S11_S12_S13_S14_S1D_S1E_S1F_S1G_S1H_S17_S18_S1A_S19_S1I_S1J_NST_IJLi26EEEENST_IJLi27ELi28EEEENST_IJLi29EEEEEEENST_IJLi26ELi27ELi28ELi29EEEElEENSB_INS5_IJSR_SP_SP_SR_SG_SG_S2D_S2F_EEENS5_IJSU_SV_SW_SY_SX_SZ_S11_S10_EEENS5_IJS1P_SX_SY_S1Q_S11_S12_NST_IJLi9ELi10EEEES1D_EEENST_IJLi8ELi9ELi10ELi11EEEElEENS5_IJNSB_INS5_IJSK_SP_SP_NSQ_INS5_IJiNS2A_IiLi2EEENS2A_IiLi64EEEEEELb0EEES2Z_EEENS5_IJSU_SV_SW_SX_SY_EEENS5_IJS1P_SX_SY_NST_IJLi5ELi6ELi7EEEENST_IJLi8ELi9ELi10EEEEEEENST_IJLi5ELi6ELi7ELi8ELi9ELi10EEEElEEEEES36_NS_31BlockToCTileMap_M00_N00_M01_N01ILi128ELi128ES1Y_Lb0EEENS1_30ComputePtrOffsetOfStridedBatchILi1ELi1ELi1EvEELb0ELb1EEEvPKT0_S3E_T1_PT2_T3_T4_T5_iT6_T7_T8_T9_T10_T11_,comdat
.Lfunc_end17:
	.size	_ZN2ck16tensor_operation6device12_GLOBAL__N_137kernel_grouped_conv_fwd_dl_multiple_dINS_32GridwiseGemmDlMultipleD_km_kn_mnILi256EffNS_5TupleIJfEEEfNS0_12element_wise11PassThroughES8_NS7_7AddReluELNS_25InMemoryDataOperationEnumE0ENS_16TensorDescriptorINS5_IJNS_5EmbedINS5_IJiiiiiEEESD_Lb0EEENS_11PassThroughIiEENS_3PadIiiiLb0EEESI_SI_SG_SG_NSC_INS5_IJiiEEESJ_Lb0EEESK_SK_SG_NS_23Merge_v2_magic_divisionINS5_IJiiiiEEEEESN_NS_8RightPadIiiLb0EEESP_NS_7UnMergeISJ_Lb0EEESG_EEENS5_IJNS_8SequenceIJLi0EEEENST_IJLi1EEEENST_IJLi2EEEENST_IJLi3EEEENST_IJLi4EEEENST_IJLi5EEEENST_IJLi6EEEENST_IJLi7EEEENST_IJLi8EEEENST_IJLi9EEEENST_IJLi10EEEENST_IJLi11ELi13ELi15ELi17EEEENST_IJLi12ELi14ELi16ELi18EEEENST_IJLi19EEEENST_IJLi20EEEENST_IJLi22EEEENST_IJLi21EEEEEEENS5_IJNST_IJLi1ELi2ELi3ELi4ELi5EEEES10_S11_S12_S13_S14_NST_IJLi11EEEENST_IJLi12ELi13EEEENST_IJLi14ELi15EEEENST_IJLi16ELi17EEEENST_IJLi18EEEES17_S18_S1A_S19_NST_IJLi23ELi24EEEENST_IJLi25EEEEEEENST_IJLi23ELi25ELi24EEEElEENSB_INS5_IJSR_SP_SP_SR_SG_EEENS5_IJSU_SV_SW_SY_SX_EEENS5_IJNST_IJLi1ELi2EEEESX_SY_NST_IJLi5ELi6EEEES11_EEENST_IJLi5ELi7ELi6EEEElEENSB_INS5_IJSK_SP_SP_EEENS5_IJSU_SV_SW_EEENS5_IJS1P_SX_SY_EEENST_IJLi3ELi4EEEElEELi128ELi128ELi16ELi1ELi4ELi4ELi1ENST_IJLi8ELi2EEEES1Z_NST_IJLi8ELi1ELi1ELi1EEEENST_IJLi2ELi1ELi128ELi1EEEENST_IJLi1ELi2ELi0ELi3EEEES22_NST_IJLi4ELi1ELi1ELi1EEEES22_NST_IJLi1ELi1ELi1ELi1EEEES20_S21_S22_S22_S23_S22_S24_NST_IJLi0ELi1ELi2ELi3ELi4ELi5EEEELi5ELi4EEEfNS5_IJPKfEEEfS8_S8_S9_NSB_INS5_IJSE_SG_SI_SI_SI_SG_SG_SK_SK_SK_SG_SN_SN_SP_SP_SR_SG_SG_NSQ_INS5_IJiNS_17integral_constantIiLi128EEEEEELb0EEENSF_INS2A_IiLi1EEEEEEEENS5_IJSU_SV_SW_SX_SY_SZ_S10_S11_S12_S13_S14_S15_S16_S17_S18_S19_S1A_NST_IJLi23EEEES1J_NST_IJLi24EEEEEEENS5_IJS1C_S10_S11_S12_S13_S14_S1D_S1E_S1F_S1G_S1H_S17_S18_S1A_S19_S1I_S1J_NST_IJLi26EEEENST_IJLi27ELi28EEEENST_IJLi29EEEEEEENST_IJLi26ELi27ELi28ELi29EEEElEENSB_INS5_IJSR_SP_SP_SR_SG_SG_S2D_S2F_EEENS5_IJSU_SV_SW_SY_SX_SZ_S11_S10_EEENS5_IJS1P_SX_SY_S1Q_S11_S12_NST_IJLi9ELi10EEEES1D_EEENST_IJLi8ELi9ELi10ELi11EEEElEENS5_IJNSB_INS5_IJSK_SP_SP_NSQ_INS5_IJiNS2A_IiLi2EEENS2A_IiLi64EEEEEELb0EEES2Z_EEENS5_IJSU_SV_SW_SX_SY_EEENS5_IJS1P_SX_SY_NST_IJLi5ELi6ELi7EEEENST_IJLi8ELi9ELi10EEEEEEENST_IJLi5ELi6ELi7ELi8ELi9ELi10EEEElEEEEES36_NS_31BlockToCTileMap_M00_N00_M01_N01ILi128ELi128ES1Y_Lb0EEENS1_30ComputePtrOffsetOfStridedBatchILi1ELi1ELi1EvEELb0ELb1EEEvPKT0_S3E_T1_PT2_T3_T4_T5_iT6_T7_T8_T9_T10_T11_, .Lfunc_end17-_ZN2ck16tensor_operation6device12_GLOBAL__N_137kernel_grouped_conv_fwd_dl_multiple_dINS_32GridwiseGemmDlMultipleD_km_kn_mnILi256EffNS_5TupleIJfEEEfNS0_12element_wise11PassThroughES8_NS7_7AddReluELNS_25InMemoryDataOperationEnumE0ENS_16TensorDescriptorINS5_IJNS_5EmbedINS5_IJiiiiiEEESD_Lb0EEENS_11PassThroughIiEENS_3PadIiiiLb0EEESI_SI_SG_SG_NSC_INS5_IJiiEEESJ_Lb0EEESK_SK_SG_NS_23Merge_v2_magic_divisionINS5_IJiiiiEEEEESN_NS_8RightPadIiiLb0EEESP_NS_7UnMergeISJ_Lb0EEESG_EEENS5_IJNS_8SequenceIJLi0EEEENST_IJLi1EEEENST_IJLi2EEEENST_IJLi3EEEENST_IJLi4EEEENST_IJLi5EEEENST_IJLi6EEEENST_IJLi7EEEENST_IJLi8EEEENST_IJLi9EEEENST_IJLi10EEEENST_IJLi11ELi13ELi15ELi17EEEENST_IJLi12ELi14ELi16ELi18EEEENST_IJLi19EEEENST_IJLi20EEEENST_IJLi22EEEENST_IJLi21EEEEEEENS5_IJNST_IJLi1ELi2ELi3ELi4ELi5EEEES10_S11_S12_S13_S14_NST_IJLi11EEEENST_IJLi12ELi13EEEENST_IJLi14ELi15EEEENST_IJLi16ELi17EEEENST_IJLi18EEEES17_S18_S1A_S19_NST_IJLi23ELi24EEEENST_IJLi25EEEEEEENST_IJLi23ELi25ELi24EEEElEENSB_INS5_IJSR_SP_SP_SR_SG_EEENS5_IJSU_SV_SW_SY_SX_EEENS5_IJNST_IJLi1ELi2EEEESX_SY_NST_IJLi5ELi6EEEES11_EEENST_IJLi5ELi7ELi6EEEElEENSB_INS5_IJSK_SP_SP_EEENS5_IJSU_SV_SW_EEENS5_IJS1P_SX_SY_EEENST_IJLi3ELi4EEEElEELi128ELi128ELi16ELi1ELi4ELi4ELi1ENST_IJLi8ELi2EEEES1Z_NST_IJLi8ELi1ELi1ELi1EEEENST_IJLi2ELi1ELi128ELi1EEEENST_IJLi1ELi2ELi0ELi3EEEES22_NST_IJLi4ELi1ELi1ELi1EEEES22_NST_IJLi1ELi1ELi1ELi1EEEES20_S21_S22_S22_S23_S22_S24_NST_IJLi0ELi1ELi2ELi3ELi4ELi5EEEELi5ELi4EEEfNS5_IJPKfEEEfS8_S8_S9_NSB_INS5_IJSE_SG_SI_SI_SI_SG_SG_SK_SK_SK_SG_SN_SN_SP_SP_SR_SG_SG_NSQ_INS5_IJiNS_17integral_constantIiLi128EEEEEELb0EEENSF_INS2A_IiLi1EEEEEEEENS5_IJSU_SV_SW_SX_SY_SZ_S10_S11_S12_S13_S14_S15_S16_S17_S18_S19_S1A_NST_IJLi23EEEES1J_NST_IJLi24EEEEEEENS5_IJS1C_S10_S11_S12_S13_S14_S1D_S1E_S1F_S1G_S1H_S17_S18_S1A_S19_S1I_S1J_NST_IJLi26EEEENST_IJLi27ELi28EEEENST_IJLi29EEEEEEENST_IJLi26ELi27ELi28ELi29EEEElEENSB_INS5_IJSR_SP_SP_SR_SG_SG_S2D_S2F_EEENS5_IJSU_SV_SW_SY_SX_SZ_S11_S10_EEENS5_IJS1P_SX_SY_S1Q_S11_S12_NST_IJLi9ELi10EEEES1D_EEENST_IJLi8ELi9ELi10ELi11EEEElEENS5_IJNSB_INS5_IJSK_SP_SP_NSQ_INS5_IJiNS2A_IiLi2EEENS2A_IiLi64EEEEEELb0EEES2Z_EEENS5_IJSU_SV_SW_SX_SY_EEENS5_IJS1P_SX_SY_NST_IJLi5ELi6ELi7EEEENST_IJLi8ELi9ELi10EEEEEEENST_IJLi5ELi6ELi7ELi8ELi9ELi10EEEElEEEEES36_NS_31BlockToCTileMap_M00_N00_M01_N01ILi128ELi128ES1Y_Lb0EEENS1_30ComputePtrOffsetOfStridedBatchILi1ELi1ELi1EvEELb0ELb1EEEvPKT0_S3E_T1_PT2_T3_T4_T5_iT6_T7_T8_T9_T10_T11_
                                        ; -- End function
	.section	.AMDGPU.csdata,"",@progbits
; Kernel info:
; codeLenInByte = 22924
; NumSgprs: 89
; NumVgprs: 105
; NumAgprs: 0
; TotalNumVgprs: 105
; ScratchSize: 0
; MemoryBound: 0
; FloatMode: 240
; IeeeMode: 1
; LDSByteSize: 32768 bytes/workgroup (compile time only)
; SGPRBlocks: 11
; VGPRBlocks: 13
; NumSGPRsForWavesPerEU: 89
; NumVGPRsForWavesPerEU: 105
; AccumOffset: 108
; Occupancy: 2
; WaveLimiterHint : 0
; COMPUTE_PGM_RSRC2:SCRATCH_EN: 0
; COMPUTE_PGM_RSRC2:USER_SGPR: 6
; COMPUTE_PGM_RSRC2:TRAP_HANDLER: 0
; COMPUTE_PGM_RSRC2:TGID_X_EN: 1
; COMPUTE_PGM_RSRC2:TGID_Y_EN: 0
; COMPUTE_PGM_RSRC2:TGID_Z_EN: 0
; COMPUTE_PGM_RSRC2:TIDIG_COMP_CNT: 0
; COMPUTE_PGM_RSRC3_GFX90A:ACCUM_OFFSET: 26
; COMPUTE_PGM_RSRC3_GFX90A:TG_SPLIT: 0
	.section	.text._ZN2ck16tensor_operation6device12_GLOBAL__N_137kernel_grouped_conv_fwd_dl_multiple_dINS_32GridwiseGemmDlMultipleD_km_kn_mnILi256EffNS_5TupleIJfEEEfNS0_12element_wise11PassThroughES8_NS7_7AddReluELNS_25InMemoryDataOperationEnumE0ENS_16TensorDescriptorINS5_IJNS_5EmbedINS5_IJiiiiiEEESD_Lb0EEENS_11PassThroughIiEENS_3PadIiiiLb0EEESI_SI_SG_SG_NSC_INS5_IJiiEEESJ_Lb0EEESK_SK_SG_NS_23Merge_v2_magic_divisionINS5_IJiiiiEEEEESN_NS_8RightPadIiiLb0EEESP_NS_7UnMergeISJ_Lb0EEESG_EEENS5_IJNS_8SequenceIJLi0EEEENST_IJLi1EEEENST_IJLi2EEEENST_IJLi3EEEENST_IJLi4EEEENST_IJLi5EEEENST_IJLi6EEEENST_IJLi7EEEENST_IJLi8EEEENST_IJLi9EEEENST_IJLi10EEEENST_IJLi11ELi13ELi15ELi17EEEENST_IJLi12ELi14ELi16ELi18EEEENST_IJLi19EEEENST_IJLi20EEEENST_IJLi22EEEENST_IJLi21EEEEEEENS5_IJNST_IJLi1ELi2ELi3ELi4ELi5EEEES10_S11_S12_S13_S14_NST_IJLi11EEEENST_IJLi12ELi13EEEENST_IJLi14ELi15EEEENST_IJLi16ELi17EEEENST_IJLi18EEEES17_S18_S1A_S19_NST_IJLi23ELi24EEEENST_IJLi25EEEEEEENST_IJLi23ELi25ELi24EEEElEENSB_INS5_IJSR_SP_SP_SR_SG_EEENS5_IJSU_SV_SW_SY_SX_EEENS5_IJNST_IJLi1ELi2EEEESX_SY_NST_IJLi5ELi6EEEES11_EEENST_IJLi5ELi7ELi6EEEElEENSB_INS5_IJSK_SP_SP_EEENS5_IJSU_SV_SW_EEENS5_IJS1P_SX_SY_EEENST_IJLi3ELi4EEEElEELi128ELi128ELi16ELi1ELi4ELi4ELi1ENST_IJLi8ELi2EEEES1Z_NST_IJLi8ELi1ELi1ELi1EEEENST_IJLi2ELi1ELi128ELi1EEEENST_IJLi1ELi2ELi0ELi3EEEES22_NST_IJLi4ELi1ELi1ELi1EEEES22_NST_IJLi1ELi1ELi1ELi1EEEES20_S21_S22_S22_S23_S22_S24_NST_IJLi0ELi1ELi2ELi3ELi4ELi5EEEELi5ELi4EEEfNS5_IJPKfEEEfS8_S8_S9_NSB_INS5_IJSE_SG_SI_SI_SI_SG_SG_SK_SK_SK_SG_SN_SN_SP_SP_SR_SG_SG_NSQ_INS5_IJiNS_17integral_constantIiLi128EEEEEELb0EEENSF_INS2A_IiLi1EEEEEEEENS5_IJSU_SV_SW_SX_SY_SZ_S10_S11_S12_S13_S14_S15_S16_S17_S18_S19_S1A_NST_IJLi23EEEES1J_NST_IJLi24EEEEEEENS5_IJS1C_S10_S11_S12_S13_S14_S1D_S1E_S1F_S1G_S1H_S17_S18_S1A_S19_S1I_S1J_NST_IJLi26EEEENST_IJLi27ELi28EEEENST_IJLi29EEEEEEENST_IJLi26ELi27ELi28ELi29EEEElEENSB_INS5_IJSR_SP_SP_SR_SG_SG_S2D_S2F_EEENS5_IJSU_SV_SW_SY_SX_SZ_S11_S10_EEENS5_IJS1P_SX_SY_S1Q_S11_S12_NST_IJLi9ELi10EEEES1D_EEENST_IJLi8ELi9ELi10ELi11EEEElEENS5_IJNSB_INS5_IJSK_SP_SP_NSQ_INS5_IJiNS2A_IiLi2EEENS2A_IiLi64EEEEEELb0EEES2Z_EEENS5_IJSU_SV_SW_SX_SY_EEENS5_IJS1P_SX_SY_NST_IJLi5ELi6ELi7EEEENST_IJLi8ELi9ELi10EEEEEEENST_IJLi5ELi6ELi7ELi8ELi9ELi10EEEElEEEEES36_NS_31BlockToCTileMap_M00_N00_M01_N01ILi128ELi128ES1Y_Lb0EEENS1_30ComputePtrOffsetOfStridedBatchILi1ELi1ELi1EvEELb0ELb0EEEvPKT0_S3E_T1_PT2_T3_T4_T5_iT6_T7_T8_T9_T10_T11_,"axG",@progbits,_ZN2ck16tensor_operation6device12_GLOBAL__N_137kernel_grouped_conv_fwd_dl_multiple_dINS_32GridwiseGemmDlMultipleD_km_kn_mnILi256EffNS_5TupleIJfEEEfNS0_12element_wise11PassThroughES8_NS7_7AddReluELNS_25InMemoryDataOperationEnumE0ENS_16TensorDescriptorINS5_IJNS_5EmbedINS5_IJiiiiiEEESD_Lb0EEENS_11PassThroughIiEENS_3PadIiiiLb0EEESI_SI_SG_SG_NSC_INS5_IJiiEEESJ_Lb0EEESK_SK_SG_NS_23Merge_v2_magic_divisionINS5_IJiiiiEEEEESN_NS_8RightPadIiiLb0EEESP_NS_7UnMergeISJ_Lb0EEESG_EEENS5_IJNS_8SequenceIJLi0EEEENST_IJLi1EEEENST_IJLi2EEEENST_IJLi3EEEENST_IJLi4EEEENST_IJLi5EEEENST_IJLi6EEEENST_IJLi7EEEENST_IJLi8EEEENST_IJLi9EEEENST_IJLi10EEEENST_IJLi11ELi13ELi15ELi17EEEENST_IJLi12ELi14ELi16ELi18EEEENST_IJLi19EEEENST_IJLi20EEEENST_IJLi22EEEENST_IJLi21EEEEEEENS5_IJNST_IJLi1ELi2ELi3ELi4ELi5EEEES10_S11_S12_S13_S14_NST_IJLi11EEEENST_IJLi12ELi13EEEENST_IJLi14ELi15EEEENST_IJLi16ELi17EEEENST_IJLi18EEEES17_S18_S1A_S19_NST_IJLi23ELi24EEEENST_IJLi25EEEEEEENST_IJLi23ELi25ELi24EEEElEENSB_INS5_IJSR_SP_SP_SR_SG_EEENS5_IJSU_SV_SW_SY_SX_EEENS5_IJNST_IJLi1ELi2EEEESX_SY_NST_IJLi5ELi6EEEES11_EEENST_IJLi5ELi7ELi6EEEElEENSB_INS5_IJSK_SP_SP_EEENS5_IJSU_SV_SW_EEENS5_IJS1P_SX_SY_EEENST_IJLi3ELi4EEEElEELi128ELi128ELi16ELi1ELi4ELi4ELi1ENST_IJLi8ELi2EEEES1Z_NST_IJLi8ELi1ELi1ELi1EEEENST_IJLi2ELi1ELi128ELi1EEEENST_IJLi1ELi2ELi0ELi3EEEES22_NST_IJLi4ELi1ELi1ELi1EEEES22_NST_IJLi1ELi1ELi1ELi1EEEES20_S21_S22_S22_S23_S22_S24_NST_IJLi0ELi1ELi2ELi3ELi4ELi5EEEELi5ELi4EEEfNS5_IJPKfEEEfS8_S8_S9_NSB_INS5_IJSE_SG_SI_SI_SI_SG_SG_SK_SK_SK_SG_SN_SN_SP_SP_SR_SG_SG_NSQ_INS5_IJiNS_17integral_constantIiLi128EEEEEELb0EEENSF_INS2A_IiLi1EEEEEEEENS5_IJSU_SV_SW_SX_SY_SZ_S10_S11_S12_S13_S14_S15_S16_S17_S18_S19_S1A_NST_IJLi23EEEES1J_NST_IJLi24EEEEEEENS5_IJS1C_S10_S11_S12_S13_S14_S1D_S1E_S1F_S1G_S1H_S17_S18_S1A_S19_S1I_S1J_NST_IJLi26EEEENST_IJLi27ELi28EEEENST_IJLi29EEEEEEENST_IJLi26ELi27ELi28ELi29EEEElEENSB_INS5_IJSR_SP_SP_SR_SG_SG_S2D_S2F_EEENS5_IJSU_SV_SW_SY_SX_SZ_S11_S10_EEENS5_IJS1P_SX_SY_S1Q_S11_S12_NST_IJLi9ELi10EEEES1D_EEENST_IJLi8ELi9ELi10ELi11EEEElEENS5_IJNSB_INS5_IJSK_SP_SP_NSQ_INS5_IJiNS2A_IiLi2EEENS2A_IiLi64EEEEEELb0EEES2Z_EEENS5_IJSU_SV_SW_SX_SY_EEENS5_IJS1P_SX_SY_NST_IJLi5ELi6ELi7EEEENST_IJLi8ELi9ELi10EEEEEEENST_IJLi5ELi6ELi7ELi8ELi9ELi10EEEElEEEEES36_NS_31BlockToCTileMap_M00_N00_M01_N01ILi128ELi128ES1Y_Lb0EEENS1_30ComputePtrOffsetOfStridedBatchILi1ELi1ELi1EvEELb0ELb0EEEvPKT0_S3E_T1_PT2_T3_T4_T5_iT6_T7_T8_T9_T10_T11_,comdat
	.globl	_ZN2ck16tensor_operation6device12_GLOBAL__N_137kernel_grouped_conv_fwd_dl_multiple_dINS_32GridwiseGemmDlMultipleD_km_kn_mnILi256EffNS_5TupleIJfEEEfNS0_12element_wise11PassThroughES8_NS7_7AddReluELNS_25InMemoryDataOperationEnumE0ENS_16TensorDescriptorINS5_IJNS_5EmbedINS5_IJiiiiiEEESD_Lb0EEENS_11PassThroughIiEENS_3PadIiiiLb0EEESI_SI_SG_SG_NSC_INS5_IJiiEEESJ_Lb0EEESK_SK_SG_NS_23Merge_v2_magic_divisionINS5_IJiiiiEEEEESN_NS_8RightPadIiiLb0EEESP_NS_7UnMergeISJ_Lb0EEESG_EEENS5_IJNS_8SequenceIJLi0EEEENST_IJLi1EEEENST_IJLi2EEEENST_IJLi3EEEENST_IJLi4EEEENST_IJLi5EEEENST_IJLi6EEEENST_IJLi7EEEENST_IJLi8EEEENST_IJLi9EEEENST_IJLi10EEEENST_IJLi11ELi13ELi15ELi17EEEENST_IJLi12ELi14ELi16ELi18EEEENST_IJLi19EEEENST_IJLi20EEEENST_IJLi22EEEENST_IJLi21EEEEEEENS5_IJNST_IJLi1ELi2ELi3ELi4ELi5EEEES10_S11_S12_S13_S14_NST_IJLi11EEEENST_IJLi12ELi13EEEENST_IJLi14ELi15EEEENST_IJLi16ELi17EEEENST_IJLi18EEEES17_S18_S1A_S19_NST_IJLi23ELi24EEEENST_IJLi25EEEEEEENST_IJLi23ELi25ELi24EEEElEENSB_INS5_IJSR_SP_SP_SR_SG_EEENS5_IJSU_SV_SW_SY_SX_EEENS5_IJNST_IJLi1ELi2EEEESX_SY_NST_IJLi5ELi6EEEES11_EEENST_IJLi5ELi7ELi6EEEElEENSB_INS5_IJSK_SP_SP_EEENS5_IJSU_SV_SW_EEENS5_IJS1P_SX_SY_EEENST_IJLi3ELi4EEEElEELi128ELi128ELi16ELi1ELi4ELi4ELi1ENST_IJLi8ELi2EEEES1Z_NST_IJLi8ELi1ELi1ELi1EEEENST_IJLi2ELi1ELi128ELi1EEEENST_IJLi1ELi2ELi0ELi3EEEES22_NST_IJLi4ELi1ELi1ELi1EEEES22_NST_IJLi1ELi1ELi1ELi1EEEES20_S21_S22_S22_S23_S22_S24_NST_IJLi0ELi1ELi2ELi3ELi4ELi5EEEELi5ELi4EEEfNS5_IJPKfEEEfS8_S8_S9_NSB_INS5_IJSE_SG_SI_SI_SI_SG_SG_SK_SK_SK_SG_SN_SN_SP_SP_SR_SG_SG_NSQ_INS5_IJiNS_17integral_constantIiLi128EEEEEELb0EEENSF_INS2A_IiLi1EEEEEEEENS5_IJSU_SV_SW_SX_SY_SZ_S10_S11_S12_S13_S14_S15_S16_S17_S18_S19_S1A_NST_IJLi23EEEES1J_NST_IJLi24EEEEEEENS5_IJS1C_S10_S11_S12_S13_S14_S1D_S1E_S1F_S1G_S1H_S17_S18_S1A_S19_S1I_S1J_NST_IJLi26EEEENST_IJLi27ELi28EEEENST_IJLi29EEEEEEENST_IJLi26ELi27ELi28ELi29EEEElEENSB_INS5_IJSR_SP_SP_SR_SG_SG_S2D_S2F_EEENS5_IJSU_SV_SW_SY_SX_SZ_S11_S10_EEENS5_IJS1P_SX_SY_S1Q_S11_S12_NST_IJLi9ELi10EEEES1D_EEENST_IJLi8ELi9ELi10ELi11EEEElEENS5_IJNSB_INS5_IJSK_SP_SP_NSQ_INS5_IJiNS2A_IiLi2EEENS2A_IiLi64EEEEEELb0EEES2Z_EEENS5_IJSU_SV_SW_SX_SY_EEENS5_IJS1P_SX_SY_NST_IJLi5ELi6ELi7EEEENST_IJLi8ELi9ELi10EEEEEEENST_IJLi5ELi6ELi7ELi8ELi9ELi10EEEElEEEEES36_NS_31BlockToCTileMap_M00_N00_M01_N01ILi128ELi128ES1Y_Lb0EEENS1_30ComputePtrOffsetOfStridedBatchILi1ELi1ELi1EvEELb0ELb0EEEvPKT0_S3E_T1_PT2_T3_T4_T5_iT6_T7_T8_T9_T10_T11_ ; -- Begin function _ZN2ck16tensor_operation6device12_GLOBAL__N_137kernel_grouped_conv_fwd_dl_multiple_dINS_32GridwiseGemmDlMultipleD_km_kn_mnILi256EffNS_5TupleIJfEEEfNS0_12element_wise11PassThroughES8_NS7_7AddReluELNS_25InMemoryDataOperationEnumE0ENS_16TensorDescriptorINS5_IJNS_5EmbedINS5_IJiiiiiEEESD_Lb0EEENS_11PassThroughIiEENS_3PadIiiiLb0EEESI_SI_SG_SG_NSC_INS5_IJiiEEESJ_Lb0EEESK_SK_SG_NS_23Merge_v2_magic_divisionINS5_IJiiiiEEEEESN_NS_8RightPadIiiLb0EEESP_NS_7UnMergeISJ_Lb0EEESG_EEENS5_IJNS_8SequenceIJLi0EEEENST_IJLi1EEEENST_IJLi2EEEENST_IJLi3EEEENST_IJLi4EEEENST_IJLi5EEEENST_IJLi6EEEENST_IJLi7EEEENST_IJLi8EEEENST_IJLi9EEEENST_IJLi10EEEENST_IJLi11ELi13ELi15ELi17EEEENST_IJLi12ELi14ELi16ELi18EEEENST_IJLi19EEEENST_IJLi20EEEENST_IJLi22EEEENST_IJLi21EEEEEEENS5_IJNST_IJLi1ELi2ELi3ELi4ELi5EEEES10_S11_S12_S13_S14_NST_IJLi11EEEENST_IJLi12ELi13EEEENST_IJLi14ELi15EEEENST_IJLi16ELi17EEEENST_IJLi18EEEES17_S18_S1A_S19_NST_IJLi23ELi24EEEENST_IJLi25EEEEEEENST_IJLi23ELi25ELi24EEEElEENSB_INS5_IJSR_SP_SP_SR_SG_EEENS5_IJSU_SV_SW_SY_SX_EEENS5_IJNST_IJLi1ELi2EEEESX_SY_NST_IJLi5ELi6EEEES11_EEENST_IJLi5ELi7ELi6EEEElEENSB_INS5_IJSK_SP_SP_EEENS5_IJSU_SV_SW_EEENS5_IJS1P_SX_SY_EEENST_IJLi3ELi4EEEElEELi128ELi128ELi16ELi1ELi4ELi4ELi1ENST_IJLi8ELi2EEEES1Z_NST_IJLi8ELi1ELi1ELi1EEEENST_IJLi2ELi1ELi128ELi1EEEENST_IJLi1ELi2ELi0ELi3EEEES22_NST_IJLi4ELi1ELi1ELi1EEEES22_NST_IJLi1ELi1ELi1ELi1EEEES20_S21_S22_S22_S23_S22_S24_NST_IJLi0ELi1ELi2ELi3ELi4ELi5EEEELi5ELi4EEEfNS5_IJPKfEEEfS8_S8_S9_NSB_INS5_IJSE_SG_SI_SI_SI_SG_SG_SK_SK_SK_SG_SN_SN_SP_SP_SR_SG_SG_NSQ_INS5_IJiNS_17integral_constantIiLi128EEEEEELb0EEENSF_INS2A_IiLi1EEEEEEEENS5_IJSU_SV_SW_SX_SY_SZ_S10_S11_S12_S13_S14_S15_S16_S17_S18_S19_S1A_NST_IJLi23EEEES1J_NST_IJLi24EEEEEEENS5_IJS1C_S10_S11_S12_S13_S14_S1D_S1E_S1F_S1G_S1H_S17_S18_S1A_S19_S1I_S1J_NST_IJLi26EEEENST_IJLi27ELi28EEEENST_IJLi29EEEEEEENST_IJLi26ELi27ELi28ELi29EEEElEENSB_INS5_IJSR_SP_SP_SR_SG_SG_S2D_S2F_EEENS5_IJSU_SV_SW_SY_SX_SZ_S11_S10_EEENS5_IJS1P_SX_SY_S1Q_S11_S12_NST_IJLi9ELi10EEEES1D_EEENST_IJLi8ELi9ELi10ELi11EEEElEENS5_IJNSB_INS5_IJSK_SP_SP_NSQ_INS5_IJiNS2A_IiLi2EEENS2A_IiLi64EEEEEELb0EEES2Z_EEENS5_IJSU_SV_SW_SX_SY_EEENS5_IJS1P_SX_SY_NST_IJLi5ELi6ELi7EEEENST_IJLi8ELi9ELi10EEEEEEENST_IJLi5ELi6ELi7ELi8ELi9ELi10EEEElEEEEES36_NS_31BlockToCTileMap_M00_N00_M01_N01ILi128ELi128ES1Y_Lb0EEENS1_30ComputePtrOffsetOfStridedBatchILi1ELi1ELi1EvEELb0ELb0EEEvPKT0_S3E_T1_PT2_T3_T4_T5_iT6_T7_T8_T9_T10_T11_
	.p2align	8
	.type	_ZN2ck16tensor_operation6device12_GLOBAL__N_137kernel_grouped_conv_fwd_dl_multiple_dINS_32GridwiseGemmDlMultipleD_km_kn_mnILi256EffNS_5TupleIJfEEEfNS0_12element_wise11PassThroughES8_NS7_7AddReluELNS_25InMemoryDataOperationEnumE0ENS_16TensorDescriptorINS5_IJNS_5EmbedINS5_IJiiiiiEEESD_Lb0EEENS_11PassThroughIiEENS_3PadIiiiLb0EEESI_SI_SG_SG_NSC_INS5_IJiiEEESJ_Lb0EEESK_SK_SG_NS_23Merge_v2_magic_divisionINS5_IJiiiiEEEEESN_NS_8RightPadIiiLb0EEESP_NS_7UnMergeISJ_Lb0EEESG_EEENS5_IJNS_8SequenceIJLi0EEEENST_IJLi1EEEENST_IJLi2EEEENST_IJLi3EEEENST_IJLi4EEEENST_IJLi5EEEENST_IJLi6EEEENST_IJLi7EEEENST_IJLi8EEEENST_IJLi9EEEENST_IJLi10EEEENST_IJLi11ELi13ELi15ELi17EEEENST_IJLi12ELi14ELi16ELi18EEEENST_IJLi19EEEENST_IJLi20EEEENST_IJLi22EEEENST_IJLi21EEEEEEENS5_IJNST_IJLi1ELi2ELi3ELi4ELi5EEEES10_S11_S12_S13_S14_NST_IJLi11EEEENST_IJLi12ELi13EEEENST_IJLi14ELi15EEEENST_IJLi16ELi17EEEENST_IJLi18EEEES17_S18_S1A_S19_NST_IJLi23ELi24EEEENST_IJLi25EEEEEEENST_IJLi23ELi25ELi24EEEElEENSB_INS5_IJSR_SP_SP_SR_SG_EEENS5_IJSU_SV_SW_SY_SX_EEENS5_IJNST_IJLi1ELi2EEEESX_SY_NST_IJLi5ELi6EEEES11_EEENST_IJLi5ELi7ELi6EEEElEENSB_INS5_IJSK_SP_SP_EEENS5_IJSU_SV_SW_EEENS5_IJS1P_SX_SY_EEENST_IJLi3ELi4EEEElEELi128ELi128ELi16ELi1ELi4ELi4ELi1ENST_IJLi8ELi2EEEES1Z_NST_IJLi8ELi1ELi1ELi1EEEENST_IJLi2ELi1ELi128ELi1EEEENST_IJLi1ELi2ELi0ELi3EEEES22_NST_IJLi4ELi1ELi1ELi1EEEES22_NST_IJLi1ELi1ELi1ELi1EEEES20_S21_S22_S22_S23_S22_S24_NST_IJLi0ELi1ELi2ELi3ELi4ELi5EEEELi5ELi4EEEfNS5_IJPKfEEEfS8_S8_S9_NSB_INS5_IJSE_SG_SI_SI_SI_SG_SG_SK_SK_SK_SG_SN_SN_SP_SP_SR_SG_SG_NSQ_INS5_IJiNS_17integral_constantIiLi128EEEEEELb0EEENSF_INS2A_IiLi1EEEEEEEENS5_IJSU_SV_SW_SX_SY_SZ_S10_S11_S12_S13_S14_S15_S16_S17_S18_S19_S1A_NST_IJLi23EEEES1J_NST_IJLi24EEEEEEENS5_IJS1C_S10_S11_S12_S13_S14_S1D_S1E_S1F_S1G_S1H_S17_S18_S1A_S19_S1I_S1J_NST_IJLi26EEEENST_IJLi27ELi28EEEENST_IJLi29EEEEEEENST_IJLi26ELi27ELi28ELi29EEEElEENSB_INS5_IJSR_SP_SP_SR_SG_SG_S2D_S2F_EEENS5_IJSU_SV_SW_SY_SX_SZ_S11_S10_EEENS5_IJS1P_SX_SY_S1Q_S11_S12_NST_IJLi9ELi10EEEES1D_EEENST_IJLi8ELi9ELi10ELi11EEEElEENS5_IJNSB_INS5_IJSK_SP_SP_NSQ_INS5_IJiNS2A_IiLi2EEENS2A_IiLi64EEEEEELb0EEES2Z_EEENS5_IJSU_SV_SW_SX_SY_EEENS5_IJS1P_SX_SY_NST_IJLi5ELi6ELi7EEEENST_IJLi8ELi9ELi10EEEEEEENST_IJLi5ELi6ELi7ELi8ELi9ELi10EEEElEEEEES36_NS_31BlockToCTileMap_M00_N00_M01_N01ILi128ELi128ES1Y_Lb0EEENS1_30ComputePtrOffsetOfStridedBatchILi1ELi1ELi1EvEELb0ELb0EEEvPKT0_S3E_T1_PT2_T3_T4_T5_iT6_T7_T8_T9_T10_T11_,@function
_ZN2ck16tensor_operation6device12_GLOBAL__N_137kernel_grouped_conv_fwd_dl_multiple_dINS_32GridwiseGemmDlMultipleD_km_kn_mnILi256EffNS_5TupleIJfEEEfNS0_12element_wise11PassThroughES8_NS7_7AddReluELNS_25InMemoryDataOperationEnumE0ENS_16TensorDescriptorINS5_IJNS_5EmbedINS5_IJiiiiiEEESD_Lb0EEENS_11PassThroughIiEENS_3PadIiiiLb0EEESI_SI_SG_SG_NSC_INS5_IJiiEEESJ_Lb0EEESK_SK_SG_NS_23Merge_v2_magic_divisionINS5_IJiiiiEEEEESN_NS_8RightPadIiiLb0EEESP_NS_7UnMergeISJ_Lb0EEESG_EEENS5_IJNS_8SequenceIJLi0EEEENST_IJLi1EEEENST_IJLi2EEEENST_IJLi3EEEENST_IJLi4EEEENST_IJLi5EEEENST_IJLi6EEEENST_IJLi7EEEENST_IJLi8EEEENST_IJLi9EEEENST_IJLi10EEEENST_IJLi11ELi13ELi15ELi17EEEENST_IJLi12ELi14ELi16ELi18EEEENST_IJLi19EEEENST_IJLi20EEEENST_IJLi22EEEENST_IJLi21EEEEEEENS5_IJNST_IJLi1ELi2ELi3ELi4ELi5EEEES10_S11_S12_S13_S14_NST_IJLi11EEEENST_IJLi12ELi13EEEENST_IJLi14ELi15EEEENST_IJLi16ELi17EEEENST_IJLi18EEEES17_S18_S1A_S19_NST_IJLi23ELi24EEEENST_IJLi25EEEEEEENST_IJLi23ELi25ELi24EEEElEENSB_INS5_IJSR_SP_SP_SR_SG_EEENS5_IJSU_SV_SW_SY_SX_EEENS5_IJNST_IJLi1ELi2EEEESX_SY_NST_IJLi5ELi6EEEES11_EEENST_IJLi5ELi7ELi6EEEElEENSB_INS5_IJSK_SP_SP_EEENS5_IJSU_SV_SW_EEENS5_IJS1P_SX_SY_EEENST_IJLi3ELi4EEEElEELi128ELi128ELi16ELi1ELi4ELi4ELi1ENST_IJLi8ELi2EEEES1Z_NST_IJLi8ELi1ELi1ELi1EEEENST_IJLi2ELi1ELi128ELi1EEEENST_IJLi1ELi2ELi0ELi3EEEES22_NST_IJLi4ELi1ELi1ELi1EEEES22_NST_IJLi1ELi1ELi1ELi1EEEES20_S21_S22_S22_S23_S22_S24_NST_IJLi0ELi1ELi2ELi3ELi4ELi5EEEELi5ELi4EEEfNS5_IJPKfEEEfS8_S8_S9_NSB_INS5_IJSE_SG_SI_SI_SI_SG_SG_SK_SK_SK_SG_SN_SN_SP_SP_SR_SG_SG_NSQ_INS5_IJiNS_17integral_constantIiLi128EEEEEELb0EEENSF_INS2A_IiLi1EEEEEEEENS5_IJSU_SV_SW_SX_SY_SZ_S10_S11_S12_S13_S14_S15_S16_S17_S18_S19_S1A_NST_IJLi23EEEES1J_NST_IJLi24EEEEEEENS5_IJS1C_S10_S11_S12_S13_S14_S1D_S1E_S1F_S1G_S1H_S17_S18_S1A_S19_S1I_S1J_NST_IJLi26EEEENST_IJLi27ELi28EEEENST_IJLi29EEEEEEENST_IJLi26ELi27ELi28ELi29EEEElEENSB_INS5_IJSR_SP_SP_SR_SG_SG_S2D_S2F_EEENS5_IJSU_SV_SW_SY_SX_SZ_S11_S10_EEENS5_IJS1P_SX_SY_S1Q_S11_S12_NST_IJLi9ELi10EEEES1D_EEENST_IJLi8ELi9ELi10ELi11EEEElEENS5_IJNSB_INS5_IJSK_SP_SP_NSQ_INS5_IJiNS2A_IiLi2EEENS2A_IiLi64EEEEEELb0EEES2Z_EEENS5_IJSU_SV_SW_SX_SY_EEENS5_IJS1P_SX_SY_NST_IJLi5ELi6ELi7EEEENST_IJLi8ELi9ELi10EEEEEEENST_IJLi5ELi6ELi7ELi8ELi9ELi10EEEElEEEEES36_NS_31BlockToCTileMap_M00_N00_M01_N01ILi128ELi128ES1Y_Lb0EEENS1_30ComputePtrOffsetOfStridedBatchILi1ELi1ELi1EvEELb0ELb0EEEvPKT0_S3E_T1_PT2_T3_T4_T5_iT6_T7_T8_T9_T10_T11_: ; @_ZN2ck16tensor_operation6device12_GLOBAL__N_137kernel_grouped_conv_fwd_dl_multiple_dINS_32GridwiseGemmDlMultipleD_km_kn_mnILi256EffNS_5TupleIJfEEEfNS0_12element_wise11PassThroughES8_NS7_7AddReluELNS_25InMemoryDataOperationEnumE0ENS_16TensorDescriptorINS5_IJNS_5EmbedINS5_IJiiiiiEEESD_Lb0EEENS_11PassThroughIiEENS_3PadIiiiLb0EEESI_SI_SG_SG_NSC_INS5_IJiiEEESJ_Lb0EEESK_SK_SG_NS_23Merge_v2_magic_divisionINS5_IJiiiiEEEEESN_NS_8RightPadIiiLb0EEESP_NS_7UnMergeISJ_Lb0EEESG_EEENS5_IJNS_8SequenceIJLi0EEEENST_IJLi1EEEENST_IJLi2EEEENST_IJLi3EEEENST_IJLi4EEEENST_IJLi5EEEENST_IJLi6EEEENST_IJLi7EEEENST_IJLi8EEEENST_IJLi9EEEENST_IJLi10EEEENST_IJLi11ELi13ELi15ELi17EEEENST_IJLi12ELi14ELi16ELi18EEEENST_IJLi19EEEENST_IJLi20EEEENST_IJLi22EEEENST_IJLi21EEEEEEENS5_IJNST_IJLi1ELi2ELi3ELi4ELi5EEEES10_S11_S12_S13_S14_NST_IJLi11EEEENST_IJLi12ELi13EEEENST_IJLi14ELi15EEEENST_IJLi16ELi17EEEENST_IJLi18EEEES17_S18_S1A_S19_NST_IJLi23ELi24EEEENST_IJLi25EEEEEEENST_IJLi23ELi25ELi24EEEElEENSB_INS5_IJSR_SP_SP_SR_SG_EEENS5_IJSU_SV_SW_SY_SX_EEENS5_IJNST_IJLi1ELi2EEEESX_SY_NST_IJLi5ELi6EEEES11_EEENST_IJLi5ELi7ELi6EEEElEENSB_INS5_IJSK_SP_SP_EEENS5_IJSU_SV_SW_EEENS5_IJS1P_SX_SY_EEENST_IJLi3ELi4EEEElEELi128ELi128ELi16ELi1ELi4ELi4ELi1ENST_IJLi8ELi2EEEES1Z_NST_IJLi8ELi1ELi1ELi1EEEENST_IJLi2ELi1ELi128ELi1EEEENST_IJLi1ELi2ELi0ELi3EEEES22_NST_IJLi4ELi1ELi1ELi1EEEES22_NST_IJLi1ELi1ELi1ELi1EEEES20_S21_S22_S22_S23_S22_S24_NST_IJLi0ELi1ELi2ELi3ELi4ELi5EEEELi5ELi4EEEfNS5_IJPKfEEEfS8_S8_S9_NSB_INS5_IJSE_SG_SI_SI_SI_SG_SG_SK_SK_SK_SG_SN_SN_SP_SP_SR_SG_SG_NSQ_INS5_IJiNS_17integral_constantIiLi128EEEEEELb0EEENSF_INS2A_IiLi1EEEEEEEENS5_IJSU_SV_SW_SX_SY_SZ_S10_S11_S12_S13_S14_S15_S16_S17_S18_S19_S1A_NST_IJLi23EEEES1J_NST_IJLi24EEEEEEENS5_IJS1C_S10_S11_S12_S13_S14_S1D_S1E_S1F_S1G_S1H_S17_S18_S1A_S19_S1I_S1J_NST_IJLi26EEEENST_IJLi27ELi28EEEENST_IJLi29EEEEEEENST_IJLi26ELi27ELi28ELi29EEEElEENSB_INS5_IJSR_SP_SP_SR_SG_SG_S2D_S2F_EEENS5_IJSU_SV_SW_SY_SX_SZ_S11_S10_EEENS5_IJS1P_SX_SY_S1Q_S11_S12_NST_IJLi9ELi10EEEES1D_EEENST_IJLi8ELi9ELi10ELi11EEEElEENS5_IJNSB_INS5_IJSK_SP_SP_NSQ_INS5_IJiNS2A_IiLi2EEENS2A_IiLi64EEEEEELb0EEES2Z_EEENS5_IJSU_SV_SW_SX_SY_EEENS5_IJS1P_SX_SY_NST_IJLi5ELi6ELi7EEEENST_IJLi8ELi9ELi10EEEEEEENST_IJLi5ELi6ELi7ELi8ELi9ELi10EEEElEEEEES36_NS_31BlockToCTileMap_M00_N00_M01_N01ILi128ELi128ES1Y_Lb0EEENS1_30ComputePtrOffsetOfStridedBatchILi1ELi1ELi1EvEELb0ELb0EEEvPKT0_S3E_T1_PT2_T3_T4_T5_iT6_T7_T8_T9_T10_T11_
; %bb.0:
	s_load_dword s33, s[4:5], 0x24
	s_load_dwordx8 s[36:43], s[4:5], 0x0
	s_load_dwordx4 s[0:3], s[4:5], 0x3c
	s_load_dword s7, s[4:5], 0x4c
	s_load_dwordx8 s[8:15], s[4:5], 0x54
	s_waitcnt lgkmcnt(0)
	s_abs_i32 s34, s33
	v_cvt_f32_u32_e32 v1, s34
	s_load_dwordx2 s[72:73], s[4:5], 0x88
	s_load_dwordx2 s[74:75], s[4:5], 0x98
	;; [unrolled: 1-line block ×3, first 2 shown]
	s_load_dword s35, s[4:5], 0x300
	s_load_dwordx8 s[24:31], s[4:5], 0xb8
	s_waitcnt lgkmcnt(0)
	s_sub_i32 s27, 0, s34
	s_load_dwordx4 s[56:59], s[4:5], 0xd8
	s_load_dwordx8 s[16:23], s[4:5], 0xec
	v_rcp_iflag_f32_e32 v1, v1
	s_waitcnt lgkmcnt(0)
	s_abs_i32 s23, s35
	s_xor_b32 s19, s35, s33
	s_ashr_i32 s19, s19, 31
	v_mul_f32_e32 v1, 0x4f7ffffe, v1
	v_cvt_u32_f32_e32 v1, v1
	v_lshlrev_b32_e32 v2, 3, v0
	v_and_b32_e32 v25, 8, v2
	v_lshrrev_b32_e32 v30, 5, v0
	v_readfirstlane_b32 s31, v1
	s_mul_i32 s27, s27, s31
	s_mul_hi_u32 s27, s31, s27
	s_add_i32 s31, s31, s27
	s_mul_hi_u32 s27, s23, s31
	s_mul_i32 s31, s27, s34
	s_sub_i32 s23, s23, s31
	s_add_i32 s31, s27, 1
	s_sub_i32 s33, s23, s34
	s_cmp_ge_u32 s23, s34
	s_cselect_b32 s27, s31, s27
	s_cselect_b32 s23, s33, s23
	s_add_i32 s31, s27, 1
	s_cmp_ge_u32 s23, s34
	s_cselect_b32 s23, s31, s27
	s_xor_b32 s23, s23, s19
	s_sub_i32 s19, s23, s19
	s_abs_i32 s23, s19
	v_cvt_f32_u32_e32 v1, s23
	s_sub_i32 s34, 0, s23
	s_abs_i32 s33, s6
	s_xor_b32 s19, s6, s19
	v_rcp_iflag_f32_e32 v1, v1
	s_ashr_i32 s19, s19, 31
	s_load_dwordx4 s[52:55], s[4:5], 0x10c
	s_load_dword s31, s[4:5], 0x120
	s_load_dword s27, s[4:5], 0x12c
	s_waitcnt lgkmcnt(0)
	s_load_dword s55, s[4:5], 0x13c
	s_load_dwordx4 s[60:63], s[4:5], 0x298
	s_load_dwordx4 s[64:67], s[4:5], 0x2ac
	v_mul_f32_e32 v1, 0x4f7ffffe, v1
	v_cvt_u32_f32_e32 v1, v1
	s_load_dwordx4 s[68:71], s[4:5], 0x2c0
	s_load_dwordx8 s[44:51], s[4:5], 0x2d8
	s_waitcnt lgkmcnt(0)
	v_mul_lo_u32 v27, s55, v25
	v_mul_hi_u32 v2, v27, s22
	v_readfirstlane_b32 s35, v1
	s_mul_i32 s34, s34, s35
	s_mul_hi_u32 s34, s35, s34
	s_add_i32 s35, s35, s34
	s_mul_hi_u32 s34, s33, s35
	s_mul_i32 s35, s34, s23
	s_sub_i32 s33, s33, s35
	s_add_i32 s35, s34, 1
	s_sub_i32 s59, s33, s23
	s_cmp_ge_u32 s33, s23
	s_cselect_b32 s34, s35, s34
	s_cselect_b32 s33, s59, s33
	s_add_i32 s35, s34, 1
	s_cmp_ge_u32 s33, s23
	s_cselect_b32 s23, s35, s34
	s_xor_b32 s23, s23, s19
	s_sub_i32 s19, s23, s19
	s_ashr_i32 s23, s19, 31
	s_mul_i32 s33, s44, s23
	s_mul_hi_u32 s34, s44, s19
	s_add_i32 s33, s34, s33
	s_mul_i32 s34, s45, s19
	s_add_i32 s35, s33, s34
	s_mul_i32 s34, s44, s19
	s_mul_i32 s33, s46, s23
	s_mul_hi_u32 s44, s46, s19
	s_add_i32 s33, s44, s33
	s_mul_i32 s44, s47, s19
	s_add_i32 s47, s33, s44
	s_mul_i32 s33, s50, s23
	s_mul_hi_u32 s44, s50, s19
	s_add_i32 s33, s44, s33
	s_mul_i32 s44, s51, s19
	s_add_i32 s51, s33, s44
	;; [unrolled: 5-line block ×3, first 2 shown]
	s_mul_i32 s44, s48, s19
	s_lshl_b64 s[44:45], s[44:45], 2
	s_add_u32 s44, s40, s44
	s_addc_u32 s45, s41, s45
	s_lshl_b64 s[34:35], s[34:35], 2
	s_mul_i32 s46, s46, s19
	s_add_u32 s40, s36, s34
	s_addc_u32 s41, s37, s35
	s_lshl_b64 s[34:35], s[46:47], 2
	s_mul_i32 s50, s50, s19
	s_add_u32 s48, s38, s34
	s_addc_u32 s49, s39, s35
	s_lshl_b64 s[34:35], s[50:51], 2
	s_add_u32 s36, s42, s34
	s_mul_hi_u32 s23, s67, s6
	s_addc_u32 s37, s43, s35
	s_add_i32 s23, s6, s23
	s_lshr_b32 s23, s23, s71
	s_mul_i32 s43, s23, s63
	s_sub_i32 s6, s6, s43
	s_mul_hi_u32 s43, s23, s66
	s_add_i32 s43, s23, s43
	s_lshr_b32 s43, s43, s70
	s_mul_i32 s50, s43, s62
	s_sub_i32 s23, s23, s50
	s_mul_hi_u32 s50, s43, s65
	s_add_i32 s50, s43, s50
	s_lshr_b32 s50, s50, s69
	v_add_u32_e32 v2, v27, v2
	s_mul_i32 s51, s50, s61
	s_mul_hi_u32 s61, s50, s64
	v_lshrrev_b32_e32 v3, s54, v2
	s_load_dword s42, s[4:5], 0x160
	s_load_dword s46, s[4:5], 0x170
	;; [unrolled: 1-line block ×6, first 2 shown]
	s_load_dwordx2 s[34:35], s[4:5], 0x1d0
	s_load_dword s19, s[4:5], 0x1dc
	s_sub_i32 s43, s43, s51
	s_load_dword s51, s[4:5], 0x27c
	s_load_dword s59, s[4:5], 0x28c
	s_add_i32 s61, s50, s61
	v_mul_hi_u32 v4, v3, s21
	s_lshr_b32 s61, s61, s68
	v_add_u32_e32 v4, v3, v4
	s_mul_i32 s61, s61, s60
	v_lshrrev_b32_e32 v4, s53, v4
	s_sub_i32 s50, s50, s61
	v_mul_lo_u32 v5, v4, s17
	s_waitcnt lgkmcnt(0)
	s_mul_i32 s50, s50, s51
	v_mul_lo_u32 v2, v3, s18
	v_sub_u32_e32 v6, v3, v5
	v_mul_hi_u32 v3, v4, s20
	s_add_i32 s23, s23, s50
	v_add_u32_e32 v3, v4, v3
	v_lshrrev_b32_e32 v1, 1, v0
	s_lshl_b32 s23, s23, 7
	v_lshrrev_b32_e32 v9, s52, v3
	v_or_b32_e32 v26, s23, v1
	v_mul_lo_u32 v3, v9, s16
	v_sub_u32_e32 v8, v4, v3
	v_mul_hi_u32 v3, v26, s30
	v_add_u32_e32 v3, v26, v3
	v_lshrrev_b32_e32 v3, s58, v3
	v_mul_lo_u32 v4, v3, s26
	v_sub_u32_e32 v5, v26, v4
	v_mul_hi_u32 v4, v3, s29
	v_add_u32_e32 v4, v3, v4
	v_lshrrev_b32_e32 v4, s57, v4
	;; [unrolled: 5-line block ×3, first 2 shown]
	v_mul_lo_u32 v10, v7, s24
	v_sub_u32_e32 v10, v4, v10
	v_mul_lo_u32 v4, v6, s76
	v_mad_u64_u32 v[18:19], s[24:25], v5, s77, v[4:5]
	v_mul_lo_u32 v4, v8, s74
	v_mad_u64_u32 v[20:21], s[24:25], v3, s75, v[4:5]
	v_mul_lo_u32 v4, v9, s72
	v_sub_u32_e32 v2, v27, v2
	v_mad_u64_u32 v[22:23], s[24:25], v10, s73, v[4:5]
	v_subrev_u32_e32 v3, s15, v18
	v_subrev_u32_e32 v4, s12, v20
	v_subrev_u32_e32 v5, s9, v22
	v_mul_lo_u32 v4, v4, s2
	v_mul_lo_u32 v3, v3, s3
	;; [unrolled: 1-line block ×5, first 2 shown]
	v_add3_u32 v3, v3, v10, v4
	v_add3_u32 v10, v3, v7, v5
	v_or_b32_e32 v3, 4, v25
	v_mul_lo_u32 v21, s55, v3
	v_mul_hi_u32 v3, v21, s22
	v_add_u32_e32 v3, v21, v3
	v_lshrrev_b32_e32 v11, s54, v3
	v_mad_u64_u32 v[2:3], s[28:29], v11, s18, v[2:3]
	v_sub_u32_e32 v12, v21, v2
	v_mul_hi_u32 v2, v11, s21
	v_add_u32_e32 v2, v11, v2
	s_mul_i32 s43, s43, s59
	v_lshrrev_b32_e32 v13, s53, v2
	s_add_i32 s6, s6, s43
	s_lshl_b32 s42, s42, 2
	s_mov_b32 s43, 0x20000
	v_lshlrev_b32_e32 v4, 2, v10
	v_mad_u64_u32 v[6:7], s[28:29], v13, s17, v[6:7]
	buffer_load_dwordx4 v[2:5], v4, s[40:43], 0 offen
	v_sub_u32_e32 v11, v11, v6
	v_mul_hi_u32 v6, v13, s20
	v_add_u32_e32 v6, v13, v6
	v_lshrrev_b32_e32 v14, s52, v6
	v_mad_u64_u32 v[6:7], s[16:17], v14, s16, v[8:9]
	v_sub_u32_e32 v6, v13, v6
	v_sub_u32_e32 v7, v14, v9
	v_mul_lo_u32 v23, v11, s76
	v_mul_lo_u32 v28, v6, s74
	;; [unrolled: 1-line block ×6, first 2 shown]
	v_mad_u64_u32 v[6:7], s[0:1], v23, s3, v[6:7]
	s_lshl_b32 s24, s6, 7
	v_add3_u32 v6, v6, v8, v9
	v_or_b32_e32 v19, s24, v1
	v_add_lshl_u32 v6, v6, v10, 2
	buffer_load_dwordx4 v[6:9], v6, s[40:43], 0 offen
	v_mul_lo_u32 v24, s39, v25
	v_mad_u64_u32 v[14:15], s[0:1], v19, s46, v[24:25]
	s_lshl_b32 s50, s47, 2
	s_mov_b32 s51, s43
	v_lshlrev_b32_e32 v10, 2, v14
	buffer_load_dwordx4 v[10:13], v10, s[48:51], 0 offen
	s_lshl_b32 s25, s39, 2
	v_add_lshl_u32 v14, v14, s25, 2
	buffer_load_dwordx4 v[14:17], v14, s[48:51], 0 offen
	s_load_dword s6, s[4:5], 0x74
	s_load_dword s22, s[4:5], 0x210
	s_load_dwordx2 s[16:17], s[4:5], 0x220
	s_load_dword s18, s[4:5], 0x22c
	s_load_dword s20, s[4:5], 0x238
	;; [unrolled: 1-line block ×3, first 2 shown]
	s_waitcnt lgkmcnt(0)
	s_sub_i32 s14, s14, s6
	v_cmp_le_i32_e64 s[2:3], s15, v18
	v_cmp_gt_i32_e64 s[6:7], s14, v18
	v_cmp_gt_i32_e32 vcc, s27, v27
	s_and_b64 s[2:3], s[2:3], s[6:7]
	s_sub_i32 s11, s11, s13
	s_and_b64 s[6:7], vcc, s[2:3]
	v_cmp_le_i32_e32 vcc, s12, v20
	v_cmp_gt_i32_e64 s[2:3], s11, v20
	v_lshlrev_b32_e32 v32, 1, v0
	s_and_b64 s[2:3], vcc, s[2:3]
	s_sub_i32 s8, s8, s10
	v_lshlrev_b32_e32 v31, 6, v30
	v_and_b32_e32 v33, 0x1f8, v32
	s_and_b64 s[6:7], s[6:7], s[2:3]
	v_cmp_le_i32_e32 vcc, s9, v22
	v_cmp_gt_i32_e64 s[2:3], s8, v22
	v_sub_u32_e32 v31, v33, v31
	v_lshlrev_b32_e32 v0, 2, v0
	s_and_b64 s[2:3], vcc, s[2:3]
	v_and_or_b32 v64, v0, 4, v31
	v_and_b32_e32 v0, 0x1fc, v32
	v_cmp_gt_i32_e64 s[0:1], s31, v26
	s_and_b64 s[2:3], s[6:7], s[2:3]
	v_sub_u32_e32 v0, v0, v33
	s_and_b64 vcc, s[0:1], s[2:3]
	v_lshl_add_u32 v65, v30, 3, v0
	v_lshlrev_b32_e32 v1, 2, v1
	v_lshl_or_b32 v1, v25, 9, v1
	v_lshlrev_b32_e32 v66, 2, v65
	v_lshlrev_b32_e32 v67, 2, v64
	v_mov_b32_e32 v25, 0
	v_mov_b32_e32 v26, 0
	;; [unrolled: 1-line block ×16, first 2 shown]
	s_waitcnt vmcnt(3)
	v_cndmask_b32_e32 v0, 0, v5, vcc
	v_add_u32_e32 v5, v18, v23
	v_cmp_le_i32_e64 s[2:3], s15, v5
	v_cmp_gt_i32_e64 s[6:7], s14, v5
	v_cndmask_b32_e32 v4, 0, v4, vcc
	v_cndmask_b32_e32 v3, 0, v3, vcc
	;; [unrolled: 1-line block ×3, first 2 shown]
	v_add_u32_e32 v18, v20, v28
	v_cmp_gt_i32_e32 vcc, s27, v21
	s_and_b64 s[2:3], s[2:3], s[6:7]
	s_and_b64 s[6:7], vcc, s[2:3]
	v_cmp_le_i32_e32 vcc, s12, v18
	v_cmp_gt_i32_e64 s[2:3], s11, v18
	v_add_u32_e32 v20, v22, v29
	s_and_b64 s[2:3], vcc, s[2:3]
	s_and_b64 s[6:7], s[6:7], s[2:3]
	v_cmp_le_i32_e32 vcc, s9, v20
	v_cmp_gt_i32_e64 s[2:3], s8, v20
	s_and_b64 s[2:3], vcc, s[2:3]
	s_and_b64 s[2:3], s[6:7], s[2:3]
	s_and_b64 vcc, s[0:1], s[2:3]
	s_waitcnt vmcnt(2)
	v_cndmask_b32_e32 v5, 0, v9, vcc
	v_cndmask_b32_e32 v8, 0, v8, vcc
	;; [unrolled: 1-line block ×4, first 2 shown]
	v_cmp_gt_i32_e32 vcc, s33, v24
	v_cmp_gt_i32_e64 s[0:1], s38, v19
	s_and_b64 vcc, vcc, s[0:1]
	s_waitcnt vmcnt(1)
	v_cndmask_b32_e32 v9, 0, v13, vcc
	v_add_u32_e32 v13, s25, v24
	v_cndmask_b32_e32 v12, 0, v12, vcc
	v_cndmask_b32_e32 v11, 0, v11, vcc
	;; [unrolled: 1-line block ×3, first 2 shown]
	v_cmp_gt_i32_e32 vcc, s33, v13
	s_and_b64 vcc, vcc, s[0:1]
	s_waitcnt vmcnt(0)
	v_cndmask_b32_e32 v13, 0, v17, vcc
	v_cndmask_b32_e32 v16, 0, v16, vcc
	;; [unrolled: 1-line block ×4, first 2 shown]
	ds_write2st64_b32 v1, v2, v3 offset1:2
	ds_write2st64_b32 v1, v4, v0 offset0:4 offset1:6
	ds_write2st64_b32 v1, v6, v7 offset0:8 offset1:10
	;; [unrolled: 1-line block ×7, first 2 shown]
	s_waitcnt lgkmcnt(0)
	s_barrier
	ds_read_b128 v[30:33], v66
	ds_read_b128 v[52:55], v67 offset:16384
	ds_read_b128 v[68:71], v67 offset:16640
	;; [unrolled: 1-line block ×3, first 2 shown]
	v_mov_b32_e32 v0, 0
	v_mov_b32_e32 v1, 0
	;; [unrolled: 1-line block ×25, first 2 shown]
	s_waitcnt lgkmcnt(2)
	;;#ASMSTART
	
             v_fmac_f32 v0, v30, v52 
             
	;;#ASMEND
	;;#ASMSTART
	
             v_fmac_f32 v1, v30, v53 
             
	;;#ASMEND
	;; [unrolled: 5-line block ×16, first 2 shown]
	s_waitcnt lgkmcnt(1)
	;;#ASMSTART
	
             v_fmac_f32 v4, v30, v68 
             
	;;#ASMEND
	;;#ASMSTART
	
             v_fmac_f32 v5, v30, v69 
             
	;;#ASMEND
	;; [unrolled: 5-line block ×16, first 2 shown]
	v_mov_b32_e32 v35, 0
	v_mov_b32_e32 v36, 0
	;; [unrolled: 1-line block ×8, first 2 shown]
	ds_read_b128 v[76:79], v66 offset:512
	s_waitcnt lgkmcnt(1)
	;;#ASMSTART
	
             v_fmac_f32 v46, v72, v52 
             
	;;#ASMEND
	;;#ASMSTART
	
             v_fmac_f32 v47, v72, v53 
             
	;;#ASMEND
	;;#ASMSTART
	
             v_fmac_f32 v50, v72, v54 
             
	;;#ASMEND
	;;#ASMSTART
	
             v_fmac_f32 v51, v72, v55 
             
	;;#ASMEND
	;;#ASMSTART
	
             v_fmac_f32 v40, v73, v52 
             
	;;#ASMEND
	;;#ASMSTART
	
             v_fmac_f32 v41, v73, v53 
             
	;;#ASMEND
	;;#ASMSTART
	
             v_fmac_f32 v42, v73, v54 
             
	;;#ASMEND
	;;#ASMSTART
	
             v_fmac_f32 v43, v73, v55 
             
	;;#ASMEND
	;;#ASMSTART
	
             v_fmac_f32 v34, v74, v52 
             
	;;#ASMEND
	;;#ASMSTART
	
             v_fmac_f32 v35, v74, v53 
             
	;;#ASMEND
	;;#ASMSTART
	
             v_fmac_f32 v36, v74, v54 
             
	;;#ASMEND
	;;#ASMSTART
	
             v_fmac_f32 v37, v74, v55 
             
	;;#ASMEND
	;;#ASMSTART
	
             v_fmac_f32 v30, v75, v52 
             
	;;#ASMEND
	;;#ASMSTART
	
             v_fmac_f32 v31, v75, v53 
             
	;;#ASMEND
	;;#ASMSTART
	
             v_fmac_f32 v32, v75, v54 
             
	;;#ASMEND
	;;#ASMSTART
	
             v_fmac_f32 v33, v75, v55 
             
	;;#ASMEND
	v_mov_b32_e32 v56, 0
	v_mov_b32_e32 v57, 0
	;; [unrolled: 1-line block ×15, first 2 shown]
	ds_read_b128 v[80:83], v67 offset:16896
	;;#ASMSTART
	
             v_fmac_f32 v56, v72, v68 
             
	;;#ASMEND
	;;#ASMSTART
	
             v_fmac_f32 v57, v72, v69 
             
	;;#ASMEND
	;; [unrolled: 5-line block ×16, first 2 shown]
	ds_read_b128 v[68:71], v67 offset:17152
	ds_read_b128 v[72:75], v66 offset:768
	s_waitcnt lgkmcnt(2)
	;;#ASMSTART
	
             v_fmac_f32 v0, v76, v80 
             
	;;#ASMEND
	;;#ASMSTART
	
             v_fmac_f32 v1, v76, v81 
             
	;;#ASMEND
	;; [unrolled: 5-line block ×16, first 2 shown]
	s_waitcnt lgkmcnt(1)
	;;#ASMSTART
	
             v_fmac_f32 v4, v76, v68 
             
	;;#ASMEND
	;;#ASMSTART
	
             v_fmac_f32 v5, v76, v69 
             
	;;#ASMEND
	;; [unrolled: 5-line block ×16, first 2 shown]
	ds_read_b128 v[76:79], v66 offset:1024
	s_waitcnt lgkmcnt(1)
	;;#ASMSTART
	
             v_fmac_f32 v46, v72, v80 
             
	;;#ASMEND
	;;#ASMSTART
	
             v_fmac_f32 v47, v72, v81 
             
	;;#ASMEND
	;; [unrolled: 5-line block ×16, first 2 shown]
	ds_read_b128 v[80:83], v67 offset:17408
	;;#ASMSTART
	
             v_fmac_f32 v56, v72, v68 
             
	;;#ASMEND
	;;#ASMSTART
	
             v_fmac_f32 v57, v72, v69 
             
	;;#ASMEND
	;; [unrolled: 5-line block ×16, first 2 shown]
	ds_read_b128 v[68:71], v67 offset:17664
	ds_read_b128 v[72:75], v66 offset:1280
	s_waitcnt lgkmcnt(2)
	;;#ASMSTART
	
             v_fmac_f32 v0, v76, v80 
             
	;;#ASMEND
	;;#ASMSTART
	
             v_fmac_f32 v1, v76, v81 
             
	;;#ASMEND
	;; [unrolled: 5-line block ×16, first 2 shown]
	s_waitcnt lgkmcnt(1)
	;;#ASMSTART
	
             v_fmac_f32 v4, v76, v68 
             
	;;#ASMEND
	;;#ASMSTART
	
             v_fmac_f32 v5, v76, v69 
             
	;;#ASMEND
	;; [unrolled: 5-line block ×16, first 2 shown]
	ds_read_b128 v[76:79], v66 offset:1536
	s_waitcnt lgkmcnt(1)
	;;#ASMSTART
	
             v_fmac_f32 v46, v72, v80 
             
	;;#ASMEND
	;;#ASMSTART
	
             v_fmac_f32 v47, v72, v81 
             
	;;#ASMEND
	;; [unrolled: 5-line block ×16, first 2 shown]
	ds_read_b128 v[80:83], v67 offset:17920
	;;#ASMSTART
	
             v_fmac_f32 v56, v72, v68 
             
	;;#ASMEND
	;;#ASMSTART
	
             v_fmac_f32 v57, v72, v69 
             
	;;#ASMEND
	;; [unrolled: 5-line block ×16, first 2 shown]
	ds_read_b128 v[68:71], v67 offset:18176
	ds_read_b128 v[72:75], v66 offset:1792
	s_waitcnt lgkmcnt(2)
	;;#ASMSTART
	
             v_fmac_f32 v0, v76, v80 
             
	;;#ASMEND
	;;#ASMSTART
	
             v_fmac_f32 v1, v76, v81 
             
	;;#ASMEND
	;; [unrolled: 5-line block ×16, first 2 shown]
	s_waitcnt lgkmcnt(1)
	;;#ASMSTART
	
             v_fmac_f32 v4, v76, v68 
             
	;;#ASMEND
	;;#ASMSTART
	
             v_fmac_f32 v5, v76, v69 
             
	;;#ASMEND
	;; [unrolled: 5-line block ×16, first 2 shown]
	ds_read_b128 v[76:79], v66 offset:2048
	s_waitcnt lgkmcnt(1)
	;;#ASMSTART
	
             v_fmac_f32 v46, v72, v80 
             
	;;#ASMEND
	;;#ASMSTART
	
             v_fmac_f32 v47, v72, v81 
             
	;;#ASMEND
	;; [unrolled: 5-line block ×16, first 2 shown]
	ds_read_b128 v[80:83], v67 offset:18432
	;;#ASMSTART
	
             v_fmac_f32 v56, v72, v68 
             
	;;#ASMEND
	;;#ASMSTART
	
             v_fmac_f32 v57, v72, v69 
             
	;;#ASMEND
	;; [unrolled: 5-line block ×16, first 2 shown]
	ds_read_b128 v[68:71], v67 offset:18688
	ds_read_b128 v[72:75], v66 offset:2304
	s_waitcnt lgkmcnt(2)
	;;#ASMSTART
	
             v_fmac_f32 v0, v76, v80 
             
	;;#ASMEND
	;;#ASMSTART
	
             v_fmac_f32 v1, v76, v81 
             
	;;#ASMEND
	;; [unrolled: 5-line block ×16, first 2 shown]
	s_waitcnt lgkmcnt(1)
	;;#ASMSTART
	
             v_fmac_f32 v4, v76, v68 
             
	;;#ASMEND
	;;#ASMSTART
	
             v_fmac_f32 v5, v76, v69 
             
	;;#ASMEND
	;; [unrolled: 5-line block ×16, first 2 shown]
	ds_read_b128 v[76:79], v66 offset:2560
	s_waitcnt lgkmcnt(1)
	;;#ASMSTART
	
             v_fmac_f32 v46, v72, v80 
             
	;;#ASMEND
	;;#ASMSTART
	
             v_fmac_f32 v47, v72, v81 
             
	;;#ASMEND
	;;#ASMSTART
	
             v_fmac_f32 v50, v72, v82 
             
	;;#ASMEND
	;;#ASMSTART
	
             v_fmac_f32 v51, v72, v83 
             
	;;#ASMEND
	;;#ASMSTART
	
             v_fmac_f32 v40, v73, v80 
             
	;;#ASMEND
	;;#ASMSTART
	
             v_fmac_f32 v41, v73, v81 
             
	;;#ASMEND
	;;#ASMSTART
	
             v_fmac_f32 v42, v73, v82 
             
	;;#ASMEND
	;;#ASMSTART
	
             v_fmac_f32 v43, v73, v83 
             
	;;#ASMEND
	;;#ASMSTART
	
             v_fmac_f32 v34, v74, v80 
             
	;;#ASMEND
	;;#ASMSTART
	
             v_fmac_f32 v35, v74, v81 
             
	;;#ASMEND
	;;#ASMSTART
	
             v_fmac_f32 v36, v74, v82 
             
	;;#ASMEND
	;;#ASMSTART
	
             v_fmac_f32 v37, v74, v83 
             
	;;#ASMEND
	;;#ASMSTART
	
             v_fmac_f32 v30, v75, v80 
             
	;;#ASMEND
	;;#ASMSTART
	
             v_fmac_f32 v31, v75, v81 
             
	;;#ASMEND
	;;#ASMSTART
	
             v_fmac_f32 v32, v75, v82 
             
	;;#ASMEND
	;;#ASMSTART
	
             v_fmac_f32 v33, v75, v83 
             
	;;#ASMEND
	ds_read_b128 v[80:83], v67 offset:18944
	;;#ASMSTART
	
             v_fmac_f32 v56, v72, v68 
             
	;;#ASMEND
	;;#ASMSTART
	
             v_fmac_f32 v57, v72, v69 
             
	;;#ASMEND
	;; [unrolled: 5-line block ×16, first 2 shown]
	ds_read_b128 v[68:71], v67 offset:19200
	ds_read_b128 v[72:75], v66 offset:2816
	s_waitcnt lgkmcnt(2)
	;;#ASMSTART
	
             v_fmac_f32 v0, v76, v80 
             
	;;#ASMEND
	;;#ASMSTART
	
             v_fmac_f32 v1, v76, v81 
             
	;;#ASMEND
	;; [unrolled: 5-line block ×16, first 2 shown]
	s_waitcnt lgkmcnt(1)
	;;#ASMSTART
	
             v_fmac_f32 v4, v76, v68 
             
	;;#ASMEND
	;;#ASMSTART
	
             v_fmac_f32 v5, v76, v69 
             
	;;#ASMEND
	;;#ASMSTART
	
             v_fmac_f32 v6, v76, v70 
             
	;;#ASMEND
	;;#ASMSTART
	
             v_fmac_f32 v7, v76, v71 
             
	;;#ASMEND
	;;#ASMSTART
	
             v_fmac_f32 v12, v77, v68 
             
	;;#ASMEND
	;;#ASMSTART
	
             v_fmac_f32 v13, v77, v69 
             
	;;#ASMEND
	;;#ASMSTART
	
             v_fmac_f32 v14, v77, v70 
             
	;;#ASMEND
	;;#ASMSTART
	
             v_fmac_f32 v15, v77, v71 
             
	;;#ASMEND
	;;#ASMSTART
	
             v_fmac_f32 v20, v78, v68 
             
	;;#ASMEND
	;;#ASMSTART
	
             v_fmac_f32 v21, v78, v69 
             
	;;#ASMEND
	;;#ASMSTART
	
             v_fmac_f32 v22, v78, v70 
             
	;;#ASMEND
	;;#ASMSTART
	
             v_fmac_f32 v23, v78, v71 
             
	;;#ASMEND
	;;#ASMSTART
	
             v_fmac_f32 v60, v79, v68 
             
	;;#ASMEND
	;;#ASMSTART
	
             v_fmac_f32 v61, v79, v69 
             
	;;#ASMEND
	;;#ASMSTART
	
             v_fmac_f32 v62, v79, v70 
             
	;;#ASMEND
	;;#ASMSTART
	
             v_fmac_f32 v63, v79, v71 
             
	;;#ASMEND
	ds_read_b128 v[76:79], v66 offset:3072
	s_waitcnt lgkmcnt(1)
	;;#ASMSTART
	
             v_fmac_f32 v46, v72, v80 
             
	;;#ASMEND
	;;#ASMSTART
	
             v_fmac_f32 v47, v72, v81 
             
	;;#ASMEND
	;; [unrolled: 5-line block ×16, first 2 shown]
	ds_read_b128 v[80:83], v67 offset:19456
	;;#ASMSTART
	
             v_fmac_f32 v56, v72, v68 
             
	;;#ASMEND
	;;#ASMSTART
	
             v_fmac_f32 v57, v72, v69 
             
	;;#ASMEND
	;; [unrolled: 5-line block ×16, first 2 shown]
	ds_read_b128 v[68:71], v67 offset:19712
	ds_read_b128 v[72:75], v66 offset:3328
	s_waitcnt lgkmcnt(2)
	;;#ASMSTART
	
             v_fmac_f32 v0, v76, v80 
             
	;;#ASMEND
	;;#ASMSTART
	
             v_fmac_f32 v1, v76, v81 
             
	;;#ASMEND
	;; [unrolled: 5-line block ×16, first 2 shown]
	s_waitcnt lgkmcnt(1)
	;;#ASMSTART
	
             v_fmac_f32 v4, v76, v68 
             
	;;#ASMEND
	;;#ASMSTART
	
             v_fmac_f32 v5, v76, v69 
             
	;;#ASMEND
	;; [unrolled: 5-line block ×16, first 2 shown]
	ds_read_b128 v[76:79], v66 offset:3584
	s_waitcnt lgkmcnt(1)
	;;#ASMSTART
	
             v_fmac_f32 v46, v72, v80 
             
	;;#ASMEND
	;;#ASMSTART
	
             v_fmac_f32 v47, v72, v81 
             
	;;#ASMEND
	;; [unrolled: 5-line block ×16, first 2 shown]
	ds_read_b128 v[80:83], v67 offset:19968
	;;#ASMSTART
	
             v_fmac_f32 v56, v72, v68 
             
	;;#ASMEND
	;;#ASMSTART
	
             v_fmac_f32 v57, v72, v69 
             
	;;#ASMEND
	;; [unrolled: 5-line block ×16, first 2 shown]
	ds_read_b128 v[68:71], v67 offset:20224
	ds_read_b128 v[72:75], v66 offset:3840
	s_waitcnt lgkmcnt(2)
	;;#ASMSTART
	
             v_fmac_f32 v0, v76, v80 
             
	;;#ASMEND
	;;#ASMSTART
	
             v_fmac_f32 v1, v76, v81 
             
	;;#ASMEND
	;; [unrolled: 5-line block ×16, first 2 shown]
	s_waitcnt lgkmcnt(1)
	;;#ASMSTART
	
             v_fmac_f32 v4, v76, v68 
             
	;;#ASMEND
	;;#ASMSTART
	
             v_fmac_f32 v5, v76, v69 
             
	;;#ASMEND
	;; [unrolled: 5-line block ×16, first 2 shown]
	ds_read_b128 v[76:79], v66 offset:4096
	s_waitcnt lgkmcnt(1)
	;;#ASMSTART
	
             v_fmac_f32 v46, v72, v80 
             
	;;#ASMEND
	;;#ASMSTART
	
             v_fmac_f32 v47, v72, v81 
             
	;;#ASMEND
	;; [unrolled: 5-line block ×16, first 2 shown]
	ds_read_b128 v[80:83], v67 offset:20480
	;;#ASMSTART
	
             v_fmac_f32 v56, v72, v68 
             
	;;#ASMEND
	;;#ASMSTART
	
             v_fmac_f32 v57, v72, v69 
             
	;;#ASMEND
	;; [unrolled: 5-line block ×16, first 2 shown]
	ds_read_b128 v[68:71], v67 offset:20736
	ds_read_b128 v[72:75], v66 offset:4352
	s_waitcnt lgkmcnt(2)
	;;#ASMSTART
	
             v_fmac_f32 v0, v76, v80 
             
	;;#ASMEND
	;;#ASMSTART
	
             v_fmac_f32 v1, v76, v81 
             
	;;#ASMEND
	;; [unrolled: 5-line block ×16, first 2 shown]
	s_waitcnt lgkmcnt(1)
	;;#ASMSTART
	
             v_fmac_f32 v4, v76, v68 
             
	;;#ASMEND
	;;#ASMSTART
	
             v_fmac_f32 v5, v76, v69 
             
	;;#ASMEND
	;; [unrolled: 5-line block ×16, first 2 shown]
	ds_read_b128 v[76:79], v66 offset:4608
	s_waitcnt lgkmcnt(1)
	;;#ASMSTART
	
             v_fmac_f32 v46, v72, v80 
             
	;;#ASMEND
	;;#ASMSTART
	
             v_fmac_f32 v47, v72, v81 
             
	;;#ASMEND
	;; [unrolled: 5-line block ×16, first 2 shown]
	ds_read_b128 v[80:83], v67 offset:20992
	;;#ASMSTART
	
             v_fmac_f32 v56, v72, v68 
             
	;;#ASMEND
	;;#ASMSTART
	
             v_fmac_f32 v57, v72, v69 
             
	;;#ASMEND
	;; [unrolled: 5-line block ×16, first 2 shown]
	ds_read_b128 v[68:71], v67 offset:21248
	ds_read_b128 v[72:75], v66 offset:4864
	s_waitcnt lgkmcnt(2)
	;;#ASMSTART
	
             v_fmac_f32 v0, v76, v80 
             
	;;#ASMEND
	;;#ASMSTART
	
             v_fmac_f32 v1, v76, v81 
             
	;;#ASMEND
	;; [unrolled: 5-line block ×16, first 2 shown]
	s_waitcnt lgkmcnt(1)
	;;#ASMSTART
	
             v_fmac_f32 v4, v76, v68 
             
	;;#ASMEND
	;;#ASMSTART
	
             v_fmac_f32 v5, v76, v69 
             
	;;#ASMEND
	;;#ASMSTART
	
             v_fmac_f32 v6, v76, v70 
             
	;;#ASMEND
	;;#ASMSTART
	
             v_fmac_f32 v7, v76, v71 
             
	;;#ASMEND
	;;#ASMSTART
	
             v_fmac_f32 v12, v77, v68 
             
	;;#ASMEND
	;;#ASMSTART
	
             v_fmac_f32 v13, v77, v69 
             
	;;#ASMEND
	;;#ASMSTART
	
             v_fmac_f32 v14, v77, v70 
             
	;;#ASMEND
	;;#ASMSTART
	
             v_fmac_f32 v15, v77, v71 
             
	;;#ASMEND
	;;#ASMSTART
	
             v_fmac_f32 v20, v78, v68 
             
	;;#ASMEND
	;;#ASMSTART
	
             v_fmac_f32 v21, v78, v69 
             
	;;#ASMEND
	;;#ASMSTART
	
             v_fmac_f32 v22, v78, v70 
             
	;;#ASMEND
	;;#ASMSTART
	
             v_fmac_f32 v23, v78, v71 
             
	;;#ASMEND
	;;#ASMSTART
	
             v_fmac_f32 v60, v79, v68 
             
	;;#ASMEND
	;;#ASMSTART
	
             v_fmac_f32 v61, v79, v69 
             
	;;#ASMEND
	;;#ASMSTART
	
             v_fmac_f32 v62, v79, v70 
             
	;;#ASMEND
	;;#ASMSTART
	
             v_fmac_f32 v63, v79, v71 
             
	;;#ASMEND
	ds_read_b128 v[76:79], v66 offset:5120
	s_waitcnt lgkmcnt(1)
	;;#ASMSTART
	
             v_fmac_f32 v46, v72, v80 
             
	;;#ASMEND
	;;#ASMSTART
	
             v_fmac_f32 v47, v72, v81 
             
	;;#ASMEND
	;; [unrolled: 5-line block ×16, first 2 shown]
	ds_read_b128 v[80:83], v67 offset:21504
	;;#ASMSTART
	
             v_fmac_f32 v56, v72, v68 
             
	;;#ASMEND
	;;#ASMSTART
	
             v_fmac_f32 v57, v72, v69 
             
	;;#ASMEND
	;; [unrolled: 5-line block ×16, first 2 shown]
	ds_read_b128 v[68:71], v67 offset:21760
	ds_read_b128 v[72:75], v66 offset:5376
	s_waitcnt lgkmcnt(2)
	;;#ASMSTART
	
             v_fmac_f32 v0, v76, v80 
             
	;;#ASMEND
	;;#ASMSTART
	
             v_fmac_f32 v1, v76, v81 
             
	;;#ASMEND
	;; [unrolled: 5-line block ×16, first 2 shown]
	s_waitcnt lgkmcnt(1)
	;;#ASMSTART
	
             v_fmac_f32 v4, v76, v68 
             
	;;#ASMEND
	;;#ASMSTART
	
             v_fmac_f32 v5, v76, v69 
             
	;;#ASMEND
	;; [unrolled: 5-line block ×16, first 2 shown]
	ds_read_b128 v[76:79], v66 offset:5632
	s_waitcnt lgkmcnt(1)
	;;#ASMSTART
	
             v_fmac_f32 v46, v72, v80 
             
	;;#ASMEND
	;;#ASMSTART
	
             v_fmac_f32 v47, v72, v81 
             
	;;#ASMEND
	;; [unrolled: 5-line block ×16, first 2 shown]
	ds_read_b128 v[80:83], v67 offset:22016
	;;#ASMSTART
	
             v_fmac_f32 v56, v72, v68 
             
	;;#ASMEND
	;;#ASMSTART
	
             v_fmac_f32 v57, v72, v69 
             
	;;#ASMEND
	;; [unrolled: 5-line block ×16, first 2 shown]
	ds_read_b128 v[68:71], v67 offset:22272
	ds_read_b128 v[72:75], v66 offset:5888
	s_waitcnt lgkmcnt(2)
	;;#ASMSTART
	
             v_fmac_f32 v0, v76, v80 
             
	;;#ASMEND
	;;#ASMSTART
	
             v_fmac_f32 v1, v76, v81 
             
	;;#ASMEND
	;; [unrolled: 5-line block ×16, first 2 shown]
	s_waitcnt lgkmcnt(1)
	;;#ASMSTART
	
             v_fmac_f32 v4, v76, v68 
             
	;;#ASMEND
	;;#ASMSTART
	
             v_fmac_f32 v5, v76, v69 
             
	;;#ASMEND
	;; [unrolled: 5-line block ×16, first 2 shown]
	ds_read_b128 v[76:79], v66 offset:6144
	s_waitcnt lgkmcnt(1)
	;;#ASMSTART
	
             v_fmac_f32 v46, v72, v80 
             
	;;#ASMEND
	;;#ASMSTART
	
             v_fmac_f32 v47, v72, v81 
             
	;;#ASMEND
	;; [unrolled: 5-line block ×16, first 2 shown]
	ds_read_b128 v[80:83], v67 offset:22528
	;;#ASMSTART
	
             v_fmac_f32 v56, v72, v68 
             
	;;#ASMEND
	;;#ASMSTART
	
             v_fmac_f32 v57, v72, v69 
             
	;;#ASMEND
	;; [unrolled: 5-line block ×16, first 2 shown]
	ds_read_b128 v[68:71], v67 offset:22784
	ds_read_b128 v[72:75], v66 offset:6400
	s_waitcnt lgkmcnt(2)
	;;#ASMSTART
	
             v_fmac_f32 v0, v76, v80 
             
	;;#ASMEND
	;;#ASMSTART
	
             v_fmac_f32 v1, v76, v81 
             
	;;#ASMEND
	;; [unrolled: 5-line block ×16, first 2 shown]
	s_waitcnt lgkmcnt(1)
	;;#ASMSTART
	
             v_fmac_f32 v4, v76, v68 
             
	;;#ASMEND
	;;#ASMSTART
	
             v_fmac_f32 v5, v76, v69 
             
	;;#ASMEND
	;; [unrolled: 5-line block ×16, first 2 shown]
	ds_read_b128 v[76:79], v66 offset:6656
	s_waitcnt lgkmcnt(1)
	;;#ASMSTART
	
             v_fmac_f32 v46, v72, v80 
             
	;;#ASMEND
	;;#ASMSTART
	
             v_fmac_f32 v47, v72, v81 
             
	;;#ASMEND
	;; [unrolled: 5-line block ×16, first 2 shown]
	ds_read_b128 v[80:83], v67 offset:23040
	;;#ASMSTART
	
             v_fmac_f32 v56, v72, v68 
             
	;;#ASMEND
	;;#ASMSTART
	
             v_fmac_f32 v57, v72, v69 
             
	;;#ASMEND
	;;#ASMSTART
	
             v_fmac_f32 v58, v72, v70 
             
	;;#ASMEND
	;;#ASMSTART
	
             v_fmac_f32 v59, v72, v71 
             
	;;#ASMEND
	;;#ASMSTART
	
             v_fmac_f32 v52, v73, v68 
             
	;;#ASMEND
	;;#ASMSTART
	
             v_fmac_f32 v53, v73, v69 
             
	;;#ASMEND
	;;#ASMSTART
	
             v_fmac_f32 v54, v73, v70 
             
	;;#ASMEND
	;;#ASMSTART
	
             v_fmac_f32 v55, v73, v71 
             
	;;#ASMEND
	;;#ASMSTART
	
             v_fmac_f32 v44, v74, v68 
             
	;;#ASMEND
	;;#ASMSTART
	
             v_fmac_f32 v45, v74, v69 
             
	;;#ASMEND
	;;#ASMSTART
	
             v_fmac_f32 v48, v74, v70 
             
	;;#ASMEND
	;;#ASMSTART
	
             v_fmac_f32 v49, v74, v71 
             
	;;#ASMEND
	;;#ASMSTART
	
             v_fmac_f32 v38, v75, v68 
             
	;;#ASMEND
	;;#ASMSTART
	
             v_fmac_f32 v39, v75, v69 
             
	;;#ASMEND
	;;#ASMSTART
	
             v_fmac_f32 v28, v75, v70 
             
	;;#ASMEND
	;;#ASMSTART
	
             v_fmac_f32 v29, v75, v71 
             
	;;#ASMEND
	ds_read_b128 v[68:71], v67 offset:23296
	ds_read_b128 v[72:75], v66 offset:6912
	s_waitcnt lgkmcnt(2)
	;;#ASMSTART
	
             v_fmac_f32 v0, v76, v80 
             
	;;#ASMEND
	;;#ASMSTART
	
             v_fmac_f32 v1, v76, v81 
             
	;;#ASMEND
	;; [unrolled: 5-line block ×16, first 2 shown]
	s_waitcnt lgkmcnt(1)
	;;#ASMSTART
	
             v_fmac_f32 v4, v76, v68 
             
	;;#ASMEND
	;;#ASMSTART
	
             v_fmac_f32 v5, v76, v69 
             
	;;#ASMEND
	;; [unrolled: 5-line block ×16, first 2 shown]
	ds_read_b128 v[76:79], v66 offset:7168
	s_waitcnt lgkmcnt(1)
	;;#ASMSTART
	
             v_fmac_f32 v46, v72, v80 
             
	;;#ASMEND
	;;#ASMSTART
	
             v_fmac_f32 v47, v72, v81 
             
	;;#ASMEND
	;; [unrolled: 5-line block ×16, first 2 shown]
	ds_read_b128 v[80:83], v67 offset:23552
	;;#ASMSTART
	
             v_fmac_f32 v56, v72, v68 
             
	;;#ASMEND
	;;#ASMSTART
	
             v_fmac_f32 v57, v72, v69 
             
	;;#ASMEND
	;; [unrolled: 5-line block ×16, first 2 shown]
	ds_read_b128 v[68:71], v67 offset:23808
	ds_read_b128 v[72:75], v66 offset:7424
	s_waitcnt lgkmcnt(2)
	;;#ASMSTART
	
             v_fmac_f32 v0, v76, v80 
             
	;;#ASMEND
	;;#ASMSTART
	
             v_fmac_f32 v1, v76, v81 
             
	;;#ASMEND
	;; [unrolled: 5-line block ×16, first 2 shown]
	s_waitcnt lgkmcnt(1)
	;;#ASMSTART
	
             v_fmac_f32 v4, v76, v68 
             
	;;#ASMEND
	;;#ASMSTART
	
             v_fmac_f32 v5, v76, v69 
             
	;;#ASMEND
	;;#ASMSTART
	
             v_fmac_f32 v6, v76, v70 
             
	;;#ASMEND
	;;#ASMSTART
	
             v_fmac_f32 v7, v76, v71 
             
	;;#ASMEND
	;;#ASMSTART
	
             v_fmac_f32 v12, v77, v68 
             
	;;#ASMEND
	;;#ASMSTART
	
             v_fmac_f32 v13, v77, v69 
             
	;;#ASMEND
	;;#ASMSTART
	
             v_fmac_f32 v14, v77, v70 
             
	;;#ASMEND
	;;#ASMSTART
	
             v_fmac_f32 v15, v77, v71 
             
	;;#ASMEND
	;;#ASMSTART
	
             v_fmac_f32 v20, v78, v68 
             
	;;#ASMEND
	;;#ASMSTART
	
             v_fmac_f32 v21, v78, v69 
             
	;;#ASMEND
	;;#ASMSTART
	
             v_fmac_f32 v22, v78, v70 
             
	;;#ASMEND
	;;#ASMSTART
	
             v_fmac_f32 v23, v78, v71 
             
	;;#ASMEND
	;;#ASMSTART
	
             v_fmac_f32 v60, v79, v68 
             
	;;#ASMEND
	;;#ASMSTART
	
             v_fmac_f32 v61, v79, v69 
             
	;;#ASMEND
	;;#ASMSTART
	
             v_fmac_f32 v62, v79, v70 
             
	;;#ASMEND
	;;#ASMSTART
	
             v_fmac_f32 v63, v79, v71 
             
	;;#ASMEND
	ds_read_b128 v[76:79], v66 offset:7680
	s_waitcnt lgkmcnt(1)
	;;#ASMSTART
	
             v_fmac_f32 v46, v72, v80 
             
	;;#ASMEND
	;;#ASMSTART
	
             v_fmac_f32 v47, v72, v81 
             
	;;#ASMEND
	;;#ASMSTART
	
             v_fmac_f32 v50, v72, v82 
             
	;;#ASMEND
	;;#ASMSTART
	
             v_fmac_f32 v51, v72, v83 
             
	;;#ASMEND
	;;#ASMSTART
	
             v_fmac_f32 v40, v73, v80 
             
	;;#ASMEND
	;;#ASMSTART
	
             v_fmac_f32 v41, v73, v81 
             
	;;#ASMEND
	;;#ASMSTART
	
             v_fmac_f32 v42, v73, v82 
             
	;;#ASMEND
	;;#ASMSTART
	
             v_fmac_f32 v43, v73, v83 
             
	;;#ASMEND
	;;#ASMSTART
	
             v_fmac_f32 v34, v74, v80 
             
	;;#ASMEND
	;;#ASMSTART
	
             v_fmac_f32 v35, v74, v81 
             
	;;#ASMEND
	;;#ASMSTART
	
             v_fmac_f32 v36, v74, v82 
             
	;;#ASMEND
	;;#ASMSTART
	
             v_fmac_f32 v37, v74, v83 
             
	;;#ASMEND
	;;#ASMSTART
	
             v_fmac_f32 v30, v75, v80 
             
	;;#ASMEND
	;;#ASMSTART
	
             v_fmac_f32 v31, v75, v81 
             
	;;#ASMEND
	;;#ASMSTART
	
             v_fmac_f32 v32, v75, v82 
             
	;;#ASMEND
	;;#ASMSTART
	
             v_fmac_f32 v33, v75, v83 
             
	;;#ASMEND
	ds_read_b128 v[80:83], v67 offset:24064
	;;#ASMSTART
	
             v_fmac_f32 v56, v72, v68 
             
	;;#ASMEND
	;;#ASMSTART
	
             v_fmac_f32 v57, v72, v69 
             
	;;#ASMEND
	;; [unrolled: 5-line block ×16, first 2 shown]
	ds_read_b128 v[68:71], v67 offset:24320
	ds_read_b128 v[72:75], v66 offset:7936
	v_add_u32_e32 v65, s23, v65
	v_add_u32_e32 v64, s24, v64
	v_mul_lo_u32 v66, v65, s34
	s_waitcnt lgkmcnt(2)
	;;#ASMSTART
	
             v_fmac_f32 v0, v76, v80 
             
	;;#ASMEND
	;;#ASMSTART
	
             v_fmac_f32 v1, v76, v81 
             
	;;#ASMEND
	;; [unrolled: 5-line block ×16, first 2 shown]
	s_waitcnt lgkmcnt(1)
	;;#ASMSTART
	
             v_fmac_f32 v4, v76, v68 
             
	;;#ASMEND
	;;#ASMSTART
	
             v_fmac_f32 v5, v76, v69 
             
	;;#ASMEND
	;; [unrolled: 5-line block ×16, first 2 shown]
	s_waitcnt lgkmcnt(0)
	;;#ASMSTART
	
             v_fmac_f32 v46, v72, v80 
             
	;;#ASMEND
	;;#ASMSTART
	
             v_fmac_f32 v47, v72, v81 
             
	;;#ASMEND
	;; [unrolled: 5-line block ×32, first 2 shown]
	v_mad_u64_u32 v[74:75], s[0:1], v64, s35, v[66:67]
	s_lshl_b32 s46, s22, 2
	s_mov_b32 s47, s43
	v_lshlrev_b32_e32 v66, 2, v74
	buffer_load_dwordx4 v[66:69], v66, s[44:47], 0 offen
	s_lshl_b32 s6, s35, 6
	v_add_lshl_u32 v70, v74, s6, 2
	buffer_load_dwordx4 v[70:73], v70, s[44:47], 0 offen
	v_add_u32_e32 v82, s34, v74
	v_lshlrev_b32_e32 v74, 2, v82
	buffer_load_dwordx4 v[74:77], v74, s[44:47], 0 offen
	s_load_dword s4, s[4:5], 0x1e8
	v_add_lshl_u32 v78, v82, s6, 2
	buffer_load_dwordx4 v[78:81], v78, s[44:47], 0 offen
	v_add_u32_e32 v90, s34, v82
	v_lshlrev_b32_e32 v82, 2, v90
	buffer_load_dwordx4 v[82:85], v82, s[44:47], 0 offen
	s_waitcnt lgkmcnt(0)
	v_cmp_gt_i32_e32 vcc, s4, v64
	v_cmp_gt_i32_e64 s[2:3], s19, v65
	v_add_lshl_u32 v86, v90, s6, 2
	buffer_load_dwordx4 v[86:89], v86, s[44:47], 0 offen
	s_and_b64 s[0:1], s[2:3], vcc
	v_add_u32_e32 v100, 64, v64
	v_add_u32_e32 v90, s34, v90
	v_or_b32_e32 v101, 1, v65
	v_or_b32_e32 v102, 2, v65
	;; [unrolled: 1-line block ×3, first 2 shown]
	v_add_u32_e32 v104, 64, v65
	s_lshl_b32 s38, s21, 2
	s_mov_b32 s39, s43
	s_lshl_b32 s7, s16, 8
	s_waitcnt vmcnt(5)
	v_cndmask_b32_e64 v69, 0, v69, s[0:1]
	v_cndmask_b32_e64 v68, 0, v68, s[0:1]
	;; [unrolled: 1-line block ×4, first 2 shown]
	v_cmp_gt_i32_e64 s[0:1], s4, v100
	v_pk_add_f32 v[0:1], v[0:1], v[66:67]
	v_lshlrev_b32_e32 v66, 2, v90
	s_and_b64 s[2:3], s[2:3], s[0:1]
	v_pk_add_f32 v[2:3], v[2:3], v[68:69]
	buffer_load_dwordx4 v[66:69], v66, s[44:47], 0 offen
	s_waitcnt vmcnt(5)
	v_cndmask_b32_e64 v73, 0, v73, s[2:3]
	v_cndmask_b32_e64 v72, 0, v72, s[2:3]
	;; [unrolled: 1-line block ×4, first 2 shown]
	v_cmp_gt_i32_e64 s[2:3], s19, v101
	v_pk_add_f32 v[4:5], v[4:5], v[70:71]
	v_add_lshl_u32 v70, v90, s6, 2
	s_and_b64 s[4:5], s[2:3], vcc
	v_pk_add_f32 v[6:7], v[6:7], v[72:73]
	buffer_load_dwordx4 v[70:73], v70, s[44:47], 0 offen
	s_waitcnt vmcnt(5)
	v_cndmask_b32_e64 v77, 0, v77, s[4:5]
	v_cndmask_b32_e64 v76, 0, v76, s[4:5]
	;; [unrolled: 1-line block ×4, first 2 shown]
	v_mad_u64_u32 v[90:91], s[4:5], s34, 61, v[90:91]
	v_pk_add_f32 v[8:9], v[8:9], v[74:75]
	v_lshlrev_b32_e32 v74, 2, v90
	v_pk_add_f32 v[10:11], v[10:11], v[76:77]
	buffer_load_dwordx4 v[74:77], v74, s[44:47], 0 offen
	s_and_b64 s[2:3], s[2:3], s[0:1]
	s_waitcnt vmcnt(5)
	v_cndmask_b32_e64 v79, 0, v79, s[2:3]
	v_cndmask_b32_e64 v78, 0, v78, s[2:3]
	v_cndmask_b32_e64 v81, 0, v81, s[2:3]
	v_cndmask_b32_e64 v80, 0, v80, s[2:3]
	v_pk_add_f32 v[12:13], v[12:13], v[78:79]
	v_add_lshl_u32 v78, v90, s6, 2
	v_cmp_gt_i32_e64 s[2:3], s19, v102
	v_pk_add_f32 v[14:15], v[14:15], v[80:81]
	buffer_load_dwordx4 v[78:81], v78, s[44:47], 0 offen
	s_and_b64 s[4:5], s[2:3], vcc
	s_waitcnt vmcnt(5)
	v_cndmask_b32_e64 v83, 0, v83, s[4:5]
	v_cndmask_b32_e64 v82, 0, v82, s[4:5]
	v_add_u32_e32 v96, s34, v90
	v_cndmask_b32_e64 v93, 0, v85, s[4:5]
	v_cndmask_b32_e64 v92, 0, v84, s[4:5]
	v_pk_add_f32 v[94:95], v[18:19], v[82:83]
	v_lshlrev_b32_e32 v18, 2, v96
	s_and_b64 s[2:3], s[2:3], s[0:1]
	buffer_load_dwordx4 v[82:85], v18, s[44:47], 0 offen
	v_pk_add_f32 v[16:17], v[16:17], v[92:93]
	s_waitcnt vmcnt(5)
	v_cndmask_b32_e64 v93, 0, v89, s[2:3]
	v_cndmask_b32_e64 v92, 0, v88, s[2:3]
	;; [unrolled: 1-line block ×3, first 2 shown]
	v_add_lshl_u32 v88, v96, s6, 2
	v_cndmask_b32_e64 v86, 0, v86, s[2:3]
	v_cmp_gt_i32_e64 s[2:3], s19, v103
	buffer_load_dwordx4 v[88:91], v88, s[44:47], 0 offen
	v_pk_add_f32 v[20:21], v[20:21], v[86:87]
	v_add_u32_e32 v86, s34, v96
	s_and_b64 s[4:5], s[2:3], vcc
	v_lshlrev_b32_e32 v87, 2, v86
	v_max_f32_e32 v19, 0, v17
	v_max_f32_e32 v18, 0, v16
	;; [unrolled: 1-line block ×4, first 2 shown]
	v_pk_add_f32 v[22:23], v[22:23], v[92:93]
	buffer_load_dwordx4 v[92:95], v87, s[44:47], 0 offen
	s_and_b64 s[2:3], s[2:3], s[0:1]
	v_add_u32_e32 v98, s34, v86
	v_max_f32_e32 v3, 0, v3
	v_max_f32_e32 v2, 0, v2
	v_max_f32_e32 v1, 0, v1
	v_max_f32_e32 v0, 0, v0
	v_max_f32_e32 v7, 0, v7
	v_max_f32_e32 v6, 0, v6
	v_max_f32_e32 v5, 0, v5
	v_max_f32_e32 v4, 0, v4
	v_max_f32_e32 v15, 0, v15
	v_max_f32_e32 v14, 0, v14
	v_max_f32_e32 v13, 0, v13
	v_max_f32_e32 v12, 0, v12
	v_max_f32_e32 v11, 0, v11
	v_max_f32_e32 v10, 0, v10
	v_max_f32_e32 v9, 0, v9
	v_max_f32_e32 v8, 0, v8
	v_max_f32_e32 v23, 0, v23
	v_max_f32_e32 v22, 0, v22
	v_max_f32_e32 v21, 0, v21
	s_waitcnt vmcnt(6)
	v_cndmask_b32_e64 v67, 0, v67, s[4:5]
	v_cndmask_b32_e64 v66, 0, v66, s[4:5]
	;; [unrolled: 1-line block ×4, first 2 shown]
	v_pk_add_f32 v[24:25], v[24:25], v[66:67]
	v_add_lshl_u32 v66, v86, s6, 2
	v_pk_add_f32 v[26:27], v[26:27], v[68:69]
	buffer_load_dwordx4 v[66:69], v66, s[44:47], 0 offen
	v_max_f32_e32 v20, 0, v20
	v_max_f32_e32 v27, 0, v27
	s_waitcnt vmcnt(6)
	v_cndmask_b32_e64 v73, 0, v73, s[2:3]
	v_cndmask_b32_e64 v72, 0, v72, s[2:3]
	;; [unrolled: 1-line block ×4, first 2 shown]
	v_cmp_gt_i32_e64 s[2:3], s19, v104
	v_pk_add_f32 v[60:61], v[60:61], v[70:71]
	v_lshlrev_b32_e32 v70, 2, v98
	s_and_b64 s[4:5], s[2:3], vcc
	v_pk_add_f32 v[62:63], v[62:63], v[72:73]
	buffer_load_dwordx4 v[70:73], v70, s[44:47], 0 offen
	s_waitcnt vmcnt(6)
	v_cndmask_b32_e64 v96, 0, v74, s[4:5]
	v_add_lshl_u32 v74, v98, s6, 2
	v_cndmask_b32_e64 v87, 0, v77, s[4:5]
	v_cndmask_b32_e64 v86, 0, v76, s[4:5]
	;; [unrolled: 1-line block ×3, first 2 shown]
	buffer_load_dwordx4 v[74:77], v74, s[44:47], 0 offen
	v_pk_add_f32 v[50:51], v[50:51], v[86:87]
	s_and_b64 s[2:3], s[2:3], s[0:1]
	v_pk_add_f32 v[46:47], v[46:47], v[96:97]
	v_max_f32_e32 v98, 0, v50
	s_waitcnt vmcnt(6)
	v_cndmask_b32_e64 v50, 0, v78, s[2:3]
	v_add_u32_e32 v78, 0x41, v65
	v_max_f32_e32 v99, 0, v51
	v_max_f32_e32 v97, 0, v47
	;; [unrolled: 1-line block ×3, first 2 shown]
	v_cndmask_b32_e64 v47, 0, v81, s[2:3]
	v_cndmask_b32_e64 v46, 0, v80, s[2:3]
	;; [unrolled: 1-line block ×3, first 2 shown]
	v_cmp_gt_i32_e64 s[2:3], s19, v78
	v_pk_add_f32 v[50:51], v[56:57], v[50:51]
	v_pk_add_f32 v[46:47], v[58:59], v[46:47]
	s_and_b64 s[4:5], s[2:3], vcc
	v_max_f32_e32 v59, 0, v47
	v_max_f32_e32 v58, 0, v46
	;; [unrolled: 1-line block ×4, first 2 shown]
	s_waitcnt vmcnt(5)
	v_cndmask_b32_e64 v47, 0, v85, s[4:5]
	v_cndmask_b32_e64 v46, 0, v84, s[4:5]
	;; [unrolled: 1-line block ×4, first 2 shown]
	s_and_b64 s[2:3], s[2:3], s[0:1]
	v_add_u32_e32 v79, 0x42, v65
	v_pk_add_f32 v[40:41], v[40:41], v[50:51]
	v_pk_add_f32 v[42:43], v[42:43], v[46:47]
	s_waitcnt vmcnt(4)
	v_cndmask_b32_e64 v47, 0, v91, s[2:3]
	v_cndmask_b32_e64 v46, 0, v90, s[2:3]
	v_cndmask_b32_e64 v51, 0, v89, s[2:3]
	v_cndmask_b32_e64 v50, 0, v88, s[2:3]
	v_cmp_gt_i32_e64 s[2:3], s19, v79
	v_pk_add_f32 v[46:47], v[54:55], v[46:47]
	s_and_b64 s[4:5], s[2:3], vcc
	v_pk_add_f32 v[50:51], v[52:53], v[50:51]
	v_max_f32_e32 v53, 0, v47
	v_max_f32_e32 v52, 0, v46
	s_waitcnt vmcnt(3)
	v_cndmask_b32_e64 v47, 0, v95, s[4:5]
	v_cndmask_b32_e64 v46, 0, v94, s[4:5]
	;; [unrolled: 1-line block ×4, first 2 shown]
	s_and_b64 s[2:3], s[2:3], s[0:1]
	v_add_u32_e32 v80, 0x43, v65
	v_pk_add_f32 v[34:35], v[34:35], v[54:55]
	v_pk_add_f32 v[36:37], v[36:37], v[46:47]
	s_lshl_b32 s6, s17, 6
	v_max_f32_e32 v63, 0, v63
	v_max_f32_e32 v62, 0, v62
	;; [unrolled: 1-line block ×14, first 2 shown]
	s_waitcnt vmcnt(2)
	v_cndmask_b32_e64 v47, 0, v69, s[2:3]
	v_cndmask_b32_e64 v46, 0, v68, s[2:3]
	;; [unrolled: 1-line block ×4, first 2 shown]
	v_cmp_gt_i32_e64 s[2:3], s19, v80
	s_and_b64 vcc, s[2:3], vcc
	v_pk_add_f32 v[44:45], v[44:45], v[54:55]
	v_pk_add_f32 v[46:47], v[48:49], v[46:47]
	v_max_f32_e32 v47, 0, v47
	v_max_f32_e32 v46, 0, v46
	;; [unrolled: 1-line block ×4, first 2 shown]
	s_waitcnt vmcnt(1)
	v_cndmask_b32_e32 v49, 0, v73, vcc
	v_cndmask_b32_e32 v48, 0, v72, vcc
	;; [unrolled: 1-line block ×4, first 2 shown]
	s_and_b64 vcc, s[2:3], s[0:1]
	v_pk_add_f32 v[32:33], v[32:33], v[48:49]
	s_waitcnt vmcnt(0)
	v_cndmask_b32_e32 v49, 0, v77, vcc
	v_cndmask_b32_e32 v48, 0, v76, vcc
	v_pk_add_f32 v[28:29], v[28:29], v[48:49]
	v_max_f32_e32 v68, 0, v28
	v_mul_lo_u32 v28, v65, s16
	v_max_f32_e32 v69, 0, v29
	v_mad_u64_u32 v[28:29], s[0:1], v64, s17, v[28:29]
	v_pk_add_f32 v[30:31], v[30:31], v[54:55]
	v_cndmask_b32_e32 v55, 0, v75, vcc
	v_cndmask_b32_e32 v54, 0, v74, vcc
	v_cmp_gt_i32_e32 vcc, s20, v64
	v_cmp_gt_i32_e64 s[0:1], s18, v65
	v_pk_add_f32 v[38:39], v[38:39], v[54:55]
	v_bfrev_b32_e32 v29, 1
	s_and_b64 s[2:3], s[0:1], vcc
	v_max_f32_e32 v66, 0, v38
	v_cndmask_b32_e64 v38, v29, 0, s[2:3]
	v_cmp_gt_i32_e64 s[2:3], s20, v100
	v_lshl_add_u32 v38, v28, 2, v38
	s_and_b64 s[0:1], s[0:1], s[2:3]
	buffer_store_dwordx4 v[0:3], v38, s[36:39], 0 offen
	v_max_f32_e32 v33, 0, v33
	v_add_u32_e32 v0, s6, v28
	v_cndmask_b32_e64 v1, v29, 0, s[0:1]
	v_cmp_gt_i32_e64 s[0:1], s18, v101
	v_lshl_add_u32 v1, v0, 2, v1
	s_and_b64 s[4:5], s[0:1], s[2:3]
	buffer_store_dwordx4 v[4:7], v1, s[36:39], 0 offen
	v_add_u32_e32 v0, s16, v0
	v_cndmask_b32_e64 v1, v29, 0, s[4:5]
	v_lshl_add_u32 v1, v0, 2, v1
	s_and_b64 s[0:1], s[0:1], vcc
	buffer_store_dwordx4 v[12:15], v1, s[36:39], 0 offen
	v_add_u32_e32 v1, s16, v28
	v_cndmask_b32_e64 v2, v29, 0, s[0:1]
	v_cmp_gt_i32_e64 s[0:1], s18, v102
	v_lshl_add_u32 v2, v1, 2, v2
	s_and_b64 s[4:5], s[0:1], vcc
	buffer_store_dwordx4 v[8:11], v2, s[36:39], 0 offen
	v_add_u32_e32 v1, s16, v1
	v_cndmask_b32_e64 v2, v29, 0, s[4:5]
	v_lshl_add_u32 v1, v1, 2, v2
	s_and_b64 s[0:1], s[0:1], s[2:3]
	buffer_store_dwordx4 v[16:19], v1, s[36:39], 0 offen
	v_add_u32_e32 v0, s16, v0
	v_cndmask_b32_e64 v1, v29, 0, s[0:1]
	v_cmp_gt_i32_e64 s[0:1], s18, v103
	v_lshl_add_u32 v1, v0, 2, v1
	s_and_b64 s[4:5], s[0:1], s[2:3]
	buffer_store_dwordx4 v[20:23], v1, s[36:39], 0 offen
	v_add_u32_e32 v0, s16, v0
	v_cndmask_b32_e64 v1, v29, 0, s[4:5]
	v_lshl_add_u32 v1, v0, 2, v1
	v_subrev_u32_e32 v0, s6, v0
	s_and_b64 s[0:1], s[0:1], vcc
	buffer_store_dwordx4 v[60:63], v1, s[36:39], 0 offen
	v_lshlrev_b32_e32 v1, 2, v0
	v_cndmask_b32_e64 v2, v29, 0, s[0:1]
	v_cmp_gt_i32_e64 s[0:1], s18, v80
	v_add_u32_e32 v2, v1, v2
	s_and_b64 s[4:5], s[0:1], vcc
	buffer_store_dwordx4 v[24:27], v2, s[36:39], 0 offen
	v_cndmask_b32_e64 v2, v29, 0, s[4:5]
	v_max_f32_e32 v32, 0, v32
	v_max_f32_e32 v31, 0, v31
	;; [unrolled: 1-line block ×3, first 2 shown]
	v_add3_u32 v1, v2, s7, v1
	s_add_i32 s4, s17, s16
	s_and_b64 s[0:1], s[0:1], s[2:3]
	buffer_store_dwordx4 v[30:33], v1, s[36:39], 0 offen
	v_lshl_add_u32 v0, s4, 6, v0
	v_cndmask_b32_e64 v1, v29, 0, s[0:1]
	v_cmp_ge_i32_e64 s[0:1], s18, v80
	v_max_f32_e32 v67, 0, v39
	v_lshl_add_u32 v1, v0, 2, v1
	s_and_b64 s[0:1], s[0:1], s[2:3]
	buffer_store_dwordx4 v[66:69], v1, s[36:39], 0 offen
	v_subrev_u32_e32 v0, s16, v0
	v_cndmask_b32_e64 v1, v29, 0, s[0:1]
	v_cmp_gt_i32_e64 s[0:1], s18, v79
	v_lshl_add_u32 v1, v0, 2, v1
	s_and_b64 s[0:1], s[0:1], vcc
	buffer_store_dwordx4 v[44:47], v1, s[36:39], 0 offen
	v_subrev_u32_e32 v0, s6, v0
	v_cndmask_b32_e64 v1, v29, 0, s[0:1]
	v_cmp_ge_i32_e64 s[0:1], s18, v79
	v_lshl_add_u32 v1, v0, 2, v1
	s_and_b64 s[0:1], s[0:1], vcc
	buffer_store_dwordx4 v[34:37], v1, s[36:39], 0 offen
	v_subrev_u32_e32 v0, s16, v0
	v_cndmask_b32_e64 v1, v29, 0, s[0:1]
	v_cmp_gt_i32_e64 s[0:1], s18, v78
	v_max_f32_e32 v40, 0, v40
	v_lshl_add_u32 v1, v0, 2, v1
	s_and_b64 s[0:1], s[0:1], s[2:3]
	buffer_store_dwordx4 v[40:43], v1, s[36:39], 0 offen
	v_add_u32_e32 v0, s6, v0
	v_cndmask_b32_e64 v1, v29, 0, s[0:1]
	v_cmp_ge_i32_e64 s[0:1], s18, v78
	v_max_f32_e32 v51, 0, v51
	v_max_f32_e32 v50, 0, v50
	v_lshl_add_u32 v1, v0, 2, v1
	v_subrev_u32_e32 v0, s16, v0
	s_and_b64 s[0:1], s[0:1], s[2:3]
	buffer_store_dwordx4 v[50:53], v1, s[36:39], 0 offen
	v_lshlrev_b32_e32 v0, 2, v0
	v_cndmask_b32_e64 v1, v29, 0, s[0:1]
	v_cmp_gt_i32_e64 s[0:1], s18, v104
	v_add_u32_e32 v1, v0, v1
	s_and_b64 s[0:1], s[0:1], vcc
	buffer_store_dwordx4 v[56:59], v1, s[36:39], 0 offen
	v_cndmask_b32_e64 v1, v29, 0, s[0:1]
	s_lshl_b32 s0, s17, 8
	v_subrev_u32_e32 v1, s0, v1
	v_add_u32_e32 v0, v1, v0
	buffer_store_dwordx4 v[96:99], v0, s[36:39], 0 offen
	s_endpgm
	.section	.rodata,"a",@progbits
	.p2align	6, 0x0
	.amdhsa_kernel _ZN2ck16tensor_operation6device12_GLOBAL__N_137kernel_grouped_conv_fwd_dl_multiple_dINS_32GridwiseGemmDlMultipleD_km_kn_mnILi256EffNS_5TupleIJfEEEfNS0_12element_wise11PassThroughES8_NS7_7AddReluELNS_25InMemoryDataOperationEnumE0ENS_16TensorDescriptorINS5_IJNS_5EmbedINS5_IJiiiiiEEESD_Lb0EEENS_11PassThroughIiEENS_3PadIiiiLb0EEESI_SI_SG_SG_NSC_INS5_IJiiEEESJ_Lb0EEESK_SK_SG_NS_23Merge_v2_magic_divisionINS5_IJiiiiEEEEESN_NS_8RightPadIiiLb0EEESP_NS_7UnMergeISJ_Lb0EEESG_EEENS5_IJNS_8SequenceIJLi0EEEENST_IJLi1EEEENST_IJLi2EEEENST_IJLi3EEEENST_IJLi4EEEENST_IJLi5EEEENST_IJLi6EEEENST_IJLi7EEEENST_IJLi8EEEENST_IJLi9EEEENST_IJLi10EEEENST_IJLi11ELi13ELi15ELi17EEEENST_IJLi12ELi14ELi16ELi18EEEENST_IJLi19EEEENST_IJLi20EEEENST_IJLi22EEEENST_IJLi21EEEEEEENS5_IJNST_IJLi1ELi2ELi3ELi4ELi5EEEES10_S11_S12_S13_S14_NST_IJLi11EEEENST_IJLi12ELi13EEEENST_IJLi14ELi15EEEENST_IJLi16ELi17EEEENST_IJLi18EEEES17_S18_S1A_S19_NST_IJLi23ELi24EEEENST_IJLi25EEEEEEENST_IJLi23ELi25ELi24EEEElEENSB_INS5_IJSR_SP_SP_SR_SG_EEENS5_IJSU_SV_SW_SY_SX_EEENS5_IJNST_IJLi1ELi2EEEESX_SY_NST_IJLi5ELi6EEEES11_EEENST_IJLi5ELi7ELi6EEEElEENSB_INS5_IJSK_SP_SP_EEENS5_IJSU_SV_SW_EEENS5_IJS1P_SX_SY_EEENST_IJLi3ELi4EEEElEELi128ELi128ELi16ELi1ELi4ELi4ELi1ENST_IJLi8ELi2EEEES1Z_NST_IJLi8ELi1ELi1ELi1EEEENST_IJLi2ELi1ELi128ELi1EEEENST_IJLi1ELi2ELi0ELi3EEEES22_NST_IJLi4ELi1ELi1ELi1EEEES22_NST_IJLi1ELi1ELi1ELi1EEEES20_S21_S22_S22_S23_S22_S24_NST_IJLi0ELi1ELi2ELi3ELi4ELi5EEEELi5ELi4EEEfNS5_IJPKfEEEfS8_S8_S9_NSB_INS5_IJSE_SG_SI_SI_SI_SG_SG_SK_SK_SK_SG_SN_SN_SP_SP_SR_SG_SG_NSQ_INS5_IJiNS_17integral_constantIiLi128EEEEEELb0EEENSF_INS2A_IiLi1EEEEEEEENS5_IJSU_SV_SW_SX_SY_SZ_S10_S11_S12_S13_S14_S15_S16_S17_S18_S19_S1A_NST_IJLi23EEEES1J_NST_IJLi24EEEEEEENS5_IJS1C_S10_S11_S12_S13_S14_S1D_S1E_S1F_S1G_S1H_S17_S18_S1A_S19_S1I_S1J_NST_IJLi26EEEENST_IJLi27ELi28EEEENST_IJLi29EEEEEEENST_IJLi26ELi27ELi28ELi29EEEElEENSB_INS5_IJSR_SP_SP_SR_SG_SG_S2D_S2F_EEENS5_IJSU_SV_SW_SY_SX_SZ_S11_S10_EEENS5_IJS1P_SX_SY_S1Q_S11_S12_NST_IJLi9ELi10EEEES1D_EEENST_IJLi8ELi9ELi10ELi11EEEElEENS5_IJNSB_INS5_IJSK_SP_SP_NSQ_INS5_IJiNS2A_IiLi2EEENS2A_IiLi64EEEEEELb0EEES2Z_EEENS5_IJSU_SV_SW_SX_SY_EEENS5_IJS1P_SX_SY_NST_IJLi5ELi6ELi7EEEENST_IJLi8ELi9ELi10EEEEEEENST_IJLi5ELi6ELi7ELi8ELi9ELi10EEEElEEEEES36_NS_31BlockToCTileMap_M00_N00_M01_N01ILi128ELi128ES1Y_Lb0EEENS1_30ComputePtrOffsetOfStridedBatchILi1ELi1ELi1EvEELb0ELb0EEEvPKT0_S3E_T1_PT2_T3_T4_T5_iT6_T7_T8_T9_T10_T11_
		.amdhsa_group_segment_fixed_size 32768
		.amdhsa_private_segment_fixed_size 0
		.amdhsa_kernarg_size 1024
		.amdhsa_user_sgpr_count 6
		.amdhsa_user_sgpr_private_segment_buffer 1
		.amdhsa_user_sgpr_dispatch_ptr 0
		.amdhsa_user_sgpr_queue_ptr 0
		.amdhsa_user_sgpr_kernarg_segment_ptr 1
		.amdhsa_user_sgpr_dispatch_id 0
		.amdhsa_user_sgpr_flat_scratch_init 0
		.amdhsa_user_sgpr_kernarg_preload_length 0
		.amdhsa_user_sgpr_kernarg_preload_offset 0
		.amdhsa_user_sgpr_private_segment_size 0
		.amdhsa_uses_dynamic_stack 0
		.amdhsa_system_sgpr_private_segment_wavefront_offset 0
		.amdhsa_system_sgpr_workgroup_id_x 1
		.amdhsa_system_sgpr_workgroup_id_y 0
		.amdhsa_system_sgpr_workgroup_id_z 0
		.amdhsa_system_sgpr_workgroup_info 0
		.amdhsa_system_vgpr_workitem_id 0
		.amdhsa_next_free_vgpr 105
		.amdhsa_next_free_sgpr 78
		.amdhsa_accum_offset 108
		.amdhsa_reserve_vcc 1
		.amdhsa_reserve_flat_scratch 0
		.amdhsa_float_round_mode_32 0
		.amdhsa_float_round_mode_16_64 0
		.amdhsa_float_denorm_mode_32 3
		.amdhsa_float_denorm_mode_16_64 3
		.amdhsa_dx10_clamp 1
		.amdhsa_ieee_mode 1
		.amdhsa_fp16_overflow 0
		.amdhsa_tg_split 0
		.amdhsa_exception_fp_ieee_invalid_op 0
		.amdhsa_exception_fp_denorm_src 0
		.amdhsa_exception_fp_ieee_div_zero 0
		.amdhsa_exception_fp_ieee_overflow 0
		.amdhsa_exception_fp_ieee_underflow 0
		.amdhsa_exception_fp_ieee_inexact 0
		.amdhsa_exception_int_div_zero 0
	.end_amdhsa_kernel
	.section	.text._ZN2ck16tensor_operation6device12_GLOBAL__N_137kernel_grouped_conv_fwd_dl_multiple_dINS_32GridwiseGemmDlMultipleD_km_kn_mnILi256EffNS_5TupleIJfEEEfNS0_12element_wise11PassThroughES8_NS7_7AddReluELNS_25InMemoryDataOperationEnumE0ENS_16TensorDescriptorINS5_IJNS_5EmbedINS5_IJiiiiiEEESD_Lb0EEENS_11PassThroughIiEENS_3PadIiiiLb0EEESI_SI_SG_SG_NSC_INS5_IJiiEEESJ_Lb0EEESK_SK_SG_NS_23Merge_v2_magic_divisionINS5_IJiiiiEEEEESN_NS_8RightPadIiiLb0EEESP_NS_7UnMergeISJ_Lb0EEESG_EEENS5_IJNS_8SequenceIJLi0EEEENST_IJLi1EEEENST_IJLi2EEEENST_IJLi3EEEENST_IJLi4EEEENST_IJLi5EEEENST_IJLi6EEEENST_IJLi7EEEENST_IJLi8EEEENST_IJLi9EEEENST_IJLi10EEEENST_IJLi11ELi13ELi15ELi17EEEENST_IJLi12ELi14ELi16ELi18EEEENST_IJLi19EEEENST_IJLi20EEEENST_IJLi22EEEENST_IJLi21EEEEEEENS5_IJNST_IJLi1ELi2ELi3ELi4ELi5EEEES10_S11_S12_S13_S14_NST_IJLi11EEEENST_IJLi12ELi13EEEENST_IJLi14ELi15EEEENST_IJLi16ELi17EEEENST_IJLi18EEEES17_S18_S1A_S19_NST_IJLi23ELi24EEEENST_IJLi25EEEEEEENST_IJLi23ELi25ELi24EEEElEENSB_INS5_IJSR_SP_SP_SR_SG_EEENS5_IJSU_SV_SW_SY_SX_EEENS5_IJNST_IJLi1ELi2EEEESX_SY_NST_IJLi5ELi6EEEES11_EEENST_IJLi5ELi7ELi6EEEElEENSB_INS5_IJSK_SP_SP_EEENS5_IJSU_SV_SW_EEENS5_IJS1P_SX_SY_EEENST_IJLi3ELi4EEEElEELi128ELi128ELi16ELi1ELi4ELi4ELi1ENST_IJLi8ELi2EEEES1Z_NST_IJLi8ELi1ELi1ELi1EEEENST_IJLi2ELi1ELi128ELi1EEEENST_IJLi1ELi2ELi0ELi3EEEES22_NST_IJLi4ELi1ELi1ELi1EEEES22_NST_IJLi1ELi1ELi1ELi1EEEES20_S21_S22_S22_S23_S22_S24_NST_IJLi0ELi1ELi2ELi3ELi4ELi5EEEELi5ELi4EEEfNS5_IJPKfEEEfS8_S8_S9_NSB_INS5_IJSE_SG_SI_SI_SI_SG_SG_SK_SK_SK_SG_SN_SN_SP_SP_SR_SG_SG_NSQ_INS5_IJiNS_17integral_constantIiLi128EEEEEELb0EEENSF_INS2A_IiLi1EEEEEEEENS5_IJSU_SV_SW_SX_SY_SZ_S10_S11_S12_S13_S14_S15_S16_S17_S18_S19_S1A_NST_IJLi23EEEES1J_NST_IJLi24EEEEEEENS5_IJS1C_S10_S11_S12_S13_S14_S1D_S1E_S1F_S1G_S1H_S17_S18_S1A_S19_S1I_S1J_NST_IJLi26EEEENST_IJLi27ELi28EEEENST_IJLi29EEEEEEENST_IJLi26ELi27ELi28ELi29EEEElEENSB_INS5_IJSR_SP_SP_SR_SG_SG_S2D_S2F_EEENS5_IJSU_SV_SW_SY_SX_SZ_S11_S10_EEENS5_IJS1P_SX_SY_S1Q_S11_S12_NST_IJLi9ELi10EEEES1D_EEENST_IJLi8ELi9ELi10ELi11EEEElEENS5_IJNSB_INS5_IJSK_SP_SP_NSQ_INS5_IJiNS2A_IiLi2EEENS2A_IiLi64EEEEEELb0EEES2Z_EEENS5_IJSU_SV_SW_SX_SY_EEENS5_IJS1P_SX_SY_NST_IJLi5ELi6ELi7EEEENST_IJLi8ELi9ELi10EEEEEEENST_IJLi5ELi6ELi7ELi8ELi9ELi10EEEElEEEEES36_NS_31BlockToCTileMap_M00_N00_M01_N01ILi128ELi128ES1Y_Lb0EEENS1_30ComputePtrOffsetOfStridedBatchILi1ELi1ELi1EvEELb0ELb0EEEvPKT0_S3E_T1_PT2_T3_T4_T5_iT6_T7_T8_T9_T10_T11_,"axG",@progbits,_ZN2ck16tensor_operation6device12_GLOBAL__N_137kernel_grouped_conv_fwd_dl_multiple_dINS_32GridwiseGemmDlMultipleD_km_kn_mnILi256EffNS_5TupleIJfEEEfNS0_12element_wise11PassThroughES8_NS7_7AddReluELNS_25InMemoryDataOperationEnumE0ENS_16TensorDescriptorINS5_IJNS_5EmbedINS5_IJiiiiiEEESD_Lb0EEENS_11PassThroughIiEENS_3PadIiiiLb0EEESI_SI_SG_SG_NSC_INS5_IJiiEEESJ_Lb0EEESK_SK_SG_NS_23Merge_v2_magic_divisionINS5_IJiiiiEEEEESN_NS_8RightPadIiiLb0EEESP_NS_7UnMergeISJ_Lb0EEESG_EEENS5_IJNS_8SequenceIJLi0EEEENST_IJLi1EEEENST_IJLi2EEEENST_IJLi3EEEENST_IJLi4EEEENST_IJLi5EEEENST_IJLi6EEEENST_IJLi7EEEENST_IJLi8EEEENST_IJLi9EEEENST_IJLi10EEEENST_IJLi11ELi13ELi15ELi17EEEENST_IJLi12ELi14ELi16ELi18EEEENST_IJLi19EEEENST_IJLi20EEEENST_IJLi22EEEENST_IJLi21EEEEEEENS5_IJNST_IJLi1ELi2ELi3ELi4ELi5EEEES10_S11_S12_S13_S14_NST_IJLi11EEEENST_IJLi12ELi13EEEENST_IJLi14ELi15EEEENST_IJLi16ELi17EEEENST_IJLi18EEEES17_S18_S1A_S19_NST_IJLi23ELi24EEEENST_IJLi25EEEEEEENST_IJLi23ELi25ELi24EEEElEENSB_INS5_IJSR_SP_SP_SR_SG_EEENS5_IJSU_SV_SW_SY_SX_EEENS5_IJNST_IJLi1ELi2EEEESX_SY_NST_IJLi5ELi6EEEES11_EEENST_IJLi5ELi7ELi6EEEElEENSB_INS5_IJSK_SP_SP_EEENS5_IJSU_SV_SW_EEENS5_IJS1P_SX_SY_EEENST_IJLi3ELi4EEEElEELi128ELi128ELi16ELi1ELi4ELi4ELi1ENST_IJLi8ELi2EEEES1Z_NST_IJLi8ELi1ELi1ELi1EEEENST_IJLi2ELi1ELi128ELi1EEEENST_IJLi1ELi2ELi0ELi3EEEES22_NST_IJLi4ELi1ELi1ELi1EEEES22_NST_IJLi1ELi1ELi1ELi1EEEES20_S21_S22_S22_S23_S22_S24_NST_IJLi0ELi1ELi2ELi3ELi4ELi5EEEELi5ELi4EEEfNS5_IJPKfEEEfS8_S8_S9_NSB_INS5_IJSE_SG_SI_SI_SI_SG_SG_SK_SK_SK_SG_SN_SN_SP_SP_SR_SG_SG_NSQ_INS5_IJiNS_17integral_constantIiLi128EEEEEELb0EEENSF_INS2A_IiLi1EEEEEEEENS5_IJSU_SV_SW_SX_SY_SZ_S10_S11_S12_S13_S14_S15_S16_S17_S18_S19_S1A_NST_IJLi23EEEES1J_NST_IJLi24EEEEEEENS5_IJS1C_S10_S11_S12_S13_S14_S1D_S1E_S1F_S1G_S1H_S17_S18_S1A_S19_S1I_S1J_NST_IJLi26EEEENST_IJLi27ELi28EEEENST_IJLi29EEEEEEENST_IJLi26ELi27ELi28ELi29EEEElEENSB_INS5_IJSR_SP_SP_SR_SG_SG_S2D_S2F_EEENS5_IJSU_SV_SW_SY_SX_SZ_S11_S10_EEENS5_IJS1P_SX_SY_S1Q_S11_S12_NST_IJLi9ELi10EEEES1D_EEENST_IJLi8ELi9ELi10ELi11EEEElEENS5_IJNSB_INS5_IJSK_SP_SP_NSQ_INS5_IJiNS2A_IiLi2EEENS2A_IiLi64EEEEEELb0EEES2Z_EEENS5_IJSU_SV_SW_SX_SY_EEENS5_IJS1P_SX_SY_NST_IJLi5ELi6ELi7EEEENST_IJLi8ELi9ELi10EEEEEEENST_IJLi5ELi6ELi7ELi8ELi9ELi10EEEElEEEEES36_NS_31BlockToCTileMap_M00_N00_M01_N01ILi128ELi128ES1Y_Lb0EEENS1_30ComputePtrOffsetOfStridedBatchILi1ELi1ELi1EvEELb0ELb0EEEvPKT0_S3E_T1_PT2_T3_T4_T5_iT6_T7_T8_T9_T10_T11_,comdat
.Lfunc_end18:
	.size	_ZN2ck16tensor_operation6device12_GLOBAL__N_137kernel_grouped_conv_fwd_dl_multiple_dINS_32GridwiseGemmDlMultipleD_km_kn_mnILi256EffNS_5TupleIJfEEEfNS0_12element_wise11PassThroughES8_NS7_7AddReluELNS_25InMemoryDataOperationEnumE0ENS_16TensorDescriptorINS5_IJNS_5EmbedINS5_IJiiiiiEEESD_Lb0EEENS_11PassThroughIiEENS_3PadIiiiLb0EEESI_SI_SG_SG_NSC_INS5_IJiiEEESJ_Lb0EEESK_SK_SG_NS_23Merge_v2_magic_divisionINS5_IJiiiiEEEEESN_NS_8RightPadIiiLb0EEESP_NS_7UnMergeISJ_Lb0EEESG_EEENS5_IJNS_8SequenceIJLi0EEEENST_IJLi1EEEENST_IJLi2EEEENST_IJLi3EEEENST_IJLi4EEEENST_IJLi5EEEENST_IJLi6EEEENST_IJLi7EEEENST_IJLi8EEEENST_IJLi9EEEENST_IJLi10EEEENST_IJLi11ELi13ELi15ELi17EEEENST_IJLi12ELi14ELi16ELi18EEEENST_IJLi19EEEENST_IJLi20EEEENST_IJLi22EEEENST_IJLi21EEEEEEENS5_IJNST_IJLi1ELi2ELi3ELi4ELi5EEEES10_S11_S12_S13_S14_NST_IJLi11EEEENST_IJLi12ELi13EEEENST_IJLi14ELi15EEEENST_IJLi16ELi17EEEENST_IJLi18EEEES17_S18_S1A_S19_NST_IJLi23ELi24EEEENST_IJLi25EEEEEEENST_IJLi23ELi25ELi24EEEElEENSB_INS5_IJSR_SP_SP_SR_SG_EEENS5_IJSU_SV_SW_SY_SX_EEENS5_IJNST_IJLi1ELi2EEEESX_SY_NST_IJLi5ELi6EEEES11_EEENST_IJLi5ELi7ELi6EEEElEENSB_INS5_IJSK_SP_SP_EEENS5_IJSU_SV_SW_EEENS5_IJS1P_SX_SY_EEENST_IJLi3ELi4EEEElEELi128ELi128ELi16ELi1ELi4ELi4ELi1ENST_IJLi8ELi2EEEES1Z_NST_IJLi8ELi1ELi1ELi1EEEENST_IJLi2ELi1ELi128ELi1EEEENST_IJLi1ELi2ELi0ELi3EEEES22_NST_IJLi4ELi1ELi1ELi1EEEES22_NST_IJLi1ELi1ELi1ELi1EEEES20_S21_S22_S22_S23_S22_S24_NST_IJLi0ELi1ELi2ELi3ELi4ELi5EEEELi5ELi4EEEfNS5_IJPKfEEEfS8_S8_S9_NSB_INS5_IJSE_SG_SI_SI_SI_SG_SG_SK_SK_SK_SG_SN_SN_SP_SP_SR_SG_SG_NSQ_INS5_IJiNS_17integral_constantIiLi128EEEEEELb0EEENSF_INS2A_IiLi1EEEEEEEENS5_IJSU_SV_SW_SX_SY_SZ_S10_S11_S12_S13_S14_S15_S16_S17_S18_S19_S1A_NST_IJLi23EEEES1J_NST_IJLi24EEEEEEENS5_IJS1C_S10_S11_S12_S13_S14_S1D_S1E_S1F_S1G_S1H_S17_S18_S1A_S19_S1I_S1J_NST_IJLi26EEEENST_IJLi27ELi28EEEENST_IJLi29EEEEEEENST_IJLi26ELi27ELi28ELi29EEEElEENSB_INS5_IJSR_SP_SP_SR_SG_SG_S2D_S2F_EEENS5_IJSU_SV_SW_SY_SX_SZ_S11_S10_EEENS5_IJS1P_SX_SY_S1Q_S11_S12_NST_IJLi9ELi10EEEES1D_EEENST_IJLi8ELi9ELi10ELi11EEEElEENS5_IJNSB_INS5_IJSK_SP_SP_NSQ_INS5_IJiNS2A_IiLi2EEENS2A_IiLi64EEEEEELb0EEES2Z_EEENS5_IJSU_SV_SW_SX_SY_EEENS5_IJS1P_SX_SY_NST_IJLi5ELi6ELi7EEEENST_IJLi8ELi9ELi10EEEEEEENST_IJLi5ELi6ELi7ELi8ELi9ELi10EEEElEEEEES36_NS_31BlockToCTileMap_M00_N00_M01_N01ILi128ELi128ES1Y_Lb0EEENS1_30ComputePtrOffsetOfStridedBatchILi1ELi1ELi1EvEELb0ELb0EEEvPKT0_S3E_T1_PT2_T3_T4_T5_iT6_T7_T8_T9_T10_T11_, .Lfunc_end18-_ZN2ck16tensor_operation6device12_GLOBAL__N_137kernel_grouped_conv_fwd_dl_multiple_dINS_32GridwiseGemmDlMultipleD_km_kn_mnILi256EffNS_5TupleIJfEEEfNS0_12element_wise11PassThroughES8_NS7_7AddReluELNS_25InMemoryDataOperationEnumE0ENS_16TensorDescriptorINS5_IJNS_5EmbedINS5_IJiiiiiEEESD_Lb0EEENS_11PassThroughIiEENS_3PadIiiiLb0EEESI_SI_SG_SG_NSC_INS5_IJiiEEESJ_Lb0EEESK_SK_SG_NS_23Merge_v2_magic_divisionINS5_IJiiiiEEEEESN_NS_8RightPadIiiLb0EEESP_NS_7UnMergeISJ_Lb0EEESG_EEENS5_IJNS_8SequenceIJLi0EEEENST_IJLi1EEEENST_IJLi2EEEENST_IJLi3EEEENST_IJLi4EEEENST_IJLi5EEEENST_IJLi6EEEENST_IJLi7EEEENST_IJLi8EEEENST_IJLi9EEEENST_IJLi10EEEENST_IJLi11ELi13ELi15ELi17EEEENST_IJLi12ELi14ELi16ELi18EEEENST_IJLi19EEEENST_IJLi20EEEENST_IJLi22EEEENST_IJLi21EEEEEEENS5_IJNST_IJLi1ELi2ELi3ELi4ELi5EEEES10_S11_S12_S13_S14_NST_IJLi11EEEENST_IJLi12ELi13EEEENST_IJLi14ELi15EEEENST_IJLi16ELi17EEEENST_IJLi18EEEES17_S18_S1A_S19_NST_IJLi23ELi24EEEENST_IJLi25EEEEEEENST_IJLi23ELi25ELi24EEEElEENSB_INS5_IJSR_SP_SP_SR_SG_EEENS5_IJSU_SV_SW_SY_SX_EEENS5_IJNST_IJLi1ELi2EEEESX_SY_NST_IJLi5ELi6EEEES11_EEENST_IJLi5ELi7ELi6EEEElEENSB_INS5_IJSK_SP_SP_EEENS5_IJSU_SV_SW_EEENS5_IJS1P_SX_SY_EEENST_IJLi3ELi4EEEElEELi128ELi128ELi16ELi1ELi4ELi4ELi1ENST_IJLi8ELi2EEEES1Z_NST_IJLi8ELi1ELi1ELi1EEEENST_IJLi2ELi1ELi128ELi1EEEENST_IJLi1ELi2ELi0ELi3EEEES22_NST_IJLi4ELi1ELi1ELi1EEEES22_NST_IJLi1ELi1ELi1ELi1EEEES20_S21_S22_S22_S23_S22_S24_NST_IJLi0ELi1ELi2ELi3ELi4ELi5EEEELi5ELi4EEEfNS5_IJPKfEEEfS8_S8_S9_NSB_INS5_IJSE_SG_SI_SI_SI_SG_SG_SK_SK_SK_SG_SN_SN_SP_SP_SR_SG_SG_NSQ_INS5_IJiNS_17integral_constantIiLi128EEEEEELb0EEENSF_INS2A_IiLi1EEEEEEEENS5_IJSU_SV_SW_SX_SY_SZ_S10_S11_S12_S13_S14_S15_S16_S17_S18_S19_S1A_NST_IJLi23EEEES1J_NST_IJLi24EEEEEEENS5_IJS1C_S10_S11_S12_S13_S14_S1D_S1E_S1F_S1G_S1H_S17_S18_S1A_S19_S1I_S1J_NST_IJLi26EEEENST_IJLi27ELi28EEEENST_IJLi29EEEEEEENST_IJLi26ELi27ELi28ELi29EEEElEENSB_INS5_IJSR_SP_SP_SR_SG_SG_S2D_S2F_EEENS5_IJSU_SV_SW_SY_SX_SZ_S11_S10_EEENS5_IJS1P_SX_SY_S1Q_S11_S12_NST_IJLi9ELi10EEEES1D_EEENST_IJLi8ELi9ELi10ELi11EEEElEENS5_IJNSB_INS5_IJSK_SP_SP_NSQ_INS5_IJiNS2A_IiLi2EEENS2A_IiLi64EEEEEELb0EEES2Z_EEENS5_IJSU_SV_SW_SX_SY_EEENS5_IJS1P_SX_SY_NST_IJLi5ELi6ELi7EEEENST_IJLi8ELi9ELi10EEEEEEENST_IJLi5ELi6ELi7ELi8ELi9ELi10EEEElEEEEES36_NS_31BlockToCTileMap_M00_N00_M01_N01ILi128ELi128ES1Y_Lb0EEENS1_30ComputePtrOffsetOfStridedBatchILi1ELi1ELi1EvEELb0ELb0EEEvPKT0_S3E_T1_PT2_T3_T4_T5_iT6_T7_T8_T9_T10_T11_
                                        ; -- End function
	.section	.AMDGPU.csdata,"",@progbits
; Kernel info:
; codeLenInByte = 13136
; NumSgprs: 82
; NumVgprs: 105
; NumAgprs: 0
; TotalNumVgprs: 105
; ScratchSize: 0
; MemoryBound: 0
; FloatMode: 240
; IeeeMode: 1
; LDSByteSize: 32768 bytes/workgroup (compile time only)
; SGPRBlocks: 10
; VGPRBlocks: 13
; NumSGPRsForWavesPerEU: 82
; NumVGPRsForWavesPerEU: 105
; AccumOffset: 108
; Occupancy: 2
; WaveLimiterHint : 0
; COMPUTE_PGM_RSRC2:SCRATCH_EN: 0
; COMPUTE_PGM_RSRC2:USER_SGPR: 6
; COMPUTE_PGM_RSRC2:TRAP_HANDLER: 0
; COMPUTE_PGM_RSRC2:TGID_X_EN: 1
; COMPUTE_PGM_RSRC2:TGID_Y_EN: 0
; COMPUTE_PGM_RSRC2:TGID_Z_EN: 0
; COMPUTE_PGM_RSRC2:TIDIG_COMP_CNT: 0
; COMPUTE_PGM_RSRC3_GFX90A:ACCUM_OFFSET: 26
; COMPUTE_PGM_RSRC3_GFX90A:TG_SPLIT: 0
	.text
	.p2alignl 6, 3212836864
	.fill 256, 4, 3212836864
	.type	__hip_cuid_a91f155f139a8b7a,@object ; @__hip_cuid_a91f155f139a8b7a
	.section	.bss,"aw",@nobits
	.globl	__hip_cuid_a91f155f139a8b7a
__hip_cuid_a91f155f139a8b7a:
	.byte	0                               ; 0x0
	.size	__hip_cuid_a91f155f139a8b7a, 1

	.ident	"AMD clang version 19.0.0git (https://github.com/RadeonOpenCompute/llvm-project roc-6.4.0 25133 c7fe45cf4b819c5991fe208aaa96edf142730f1d)"
	.section	".note.GNU-stack","",@progbits
	.addrsig
	.addrsig_sym __hip_cuid_a91f155f139a8b7a
	.amdgpu_metadata
---
amdhsa.kernels:
  - .agpr_count:     0
    .args:           []
    .group_segment_fixed_size: 0
    .kernarg_segment_align: 4
    .kernarg_segment_size: 0
    .language:       OpenCL C
    .language_version:
      - 2
      - 0
    .max_flat_workgroup_size: 1024
    .name:           _ZN2ckL12flush_icacheEv
    .private_segment_fixed_size: 0
    .sgpr_count:     4
    .sgpr_spill_count: 0
    .symbol:         _ZN2ckL12flush_icacheEv.kd
    .uniform_work_group_size: 1
    .uses_dynamic_stack: false
    .vgpr_count:     0
    .vgpr_spill_count: 0
    .wavefront_size: 64
  - .agpr_count:     12
    .args:
      - .address_space:  global
        .offset:         0
        .size:           8
        .value_kind:     global_buffer
      - .address_space:  global
        .offset:         8
        .size:           8
        .value_kind:     global_buffer
      - .address_space:  global
        .offset:         16
        .size:           8
        .value_kind:     global_buffer
      - .address_space:  global
        .offset:         24
        .size:           8
        .value_kind:     global_buffer
      - .offset:         32
        .size:           1
        .value_kind:     by_value
      - .offset:         33
        .size:           1
        .value_kind:     by_value
      - .offset:         34
        .size:           1
        .value_kind:     by_value
      - .offset:         36
        .size:           4
        .value_kind:     by_value
      - .offset:         40
        .size:           200
        .value_kind:     by_value
      - .offset:         240
        .size:           96
        .value_kind:     by_value
      - .offset:         336
        .size:           80
        .value_kind:     by_value
      - .offset:         416
        .size:           80
        .value_kind:     by_value
      - .offset:         496
        .size:           112
        .value_kind:     by_value
      - .offset:         608
        .size:           40
        .value_kind:     by_value
      - .offset:         648
        .size:           4
        .value_kind:     hidden_block_count_x
      - .offset:         652
        .size:           4
        .value_kind:     hidden_block_count_y
      - .offset:         656
        .size:           4
        .value_kind:     hidden_block_count_z
      - .offset:         660
        .size:           2
        .value_kind:     hidden_group_size_x
      - .offset:         662
        .size:           2
        .value_kind:     hidden_group_size_y
      - .offset:         664
        .size:           2
        .value_kind:     hidden_group_size_z
      - .offset:         666
        .size:           2
        .value_kind:     hidden_remainder_x
      - .offset:         668
        .size:           2
        .value_kind:     hidden_remainder_y
      - .offset:         670
        .size:           2
        .value_kind:     hidden_remainder_z
      - .offset:         688
        .size:           8
        .value_kind:     hidden_global_offset_x
      - .offset:         696
        .size:           8
        .value_kind:     hidden_global_offset_y
      - .offset:         704
        .size:           8
        .value_kind:     hidden_global_offset_z
      - .offset:         712
        .size:           2
        .value_kind:     hidden_grid_dims
    .group_segment_fixed_size: 32768
    .kernarg_segment_align: 8
    .kernarg_segment_size: 904
    .language:       OpenCL C
    .language_version:
      - 2
      - 0
    .max_flat_workgroup_size: 256
    .name:           _ZN2ck16tensor_operation6device12_GLOBAL__N_137kernel_grouped_conv_fwd_dl_multiple_dINS_32GridwiseGemmDlMultipleD_km_kn_mnILi256EffNS_5TupleIJfEEEfNS0_12element_wise11PassThroughES8_NS7_7AddReluELNS_25InMemoryDataOperationEnumE0ENS_16TensorDescriptorINS5_IJNS_5EmbedINS5_IJiiiEEESD_Lb0EEENS_11PassThroughIiEENS_3PadIiiiLb0EEESG_SG_NSC_INS5_IJiiEEESJ_Lb0EEESG_NS_23Merge_v2_magic_divisionISJ_EESM_NS_8RightPadIiiLb0EEESO_NS_7UnMergeISJ_Lb0EEESG_EEENS5_IJNS_8SequenceIJLi0EEEENSS_IJLi1EEEENSS_IJLi2EEEENSS_IJLi3EEEENSS_IJLi4EEEENSS_IJLi5EEEENSS_IJLi6EEEENSS_IJLi7ELi9EEEENSS_IJLi8ELi10EEEENSS_IJLi11EEEENSS_IJLi12EEEENSS_IJLi14EEEENSS_IJLi13EEEEEEENS5_IJNSS_IJLi1ELi2ELi3EEEESX_SY_SZ_NSS_IJLi7EEEENSS_IJLi8ELi9EEEENSS_IJLi10EEEES12_S13_S15_S14_NSS_IJLi15ELi16EEEENSS_IJLi17EEEEEEENSS_IJLi15ELi17ELi16EEEElEENSB_INS5_IJSQ_SO_SO_SQ_SG_EEENS5_IJST_SU_SV_SX_SW_EEENS5_IJNSS_IJLi1ELi2EEEESW_SX_NSS_IJLi5ELi6EEEES18_EEENSS_IJLi5ELi7ELi6EEEElEENSB_INS5_IJSK_SO_SO_EEENS5_IJST_SU_SV_EEENS5_IJS1I_SW_SX_EEENSS_IJLi3ELi4EEEElEELi128ELi128ELi16ELi1ELi4ELi4ELi1ENSS_IJLi8ELi2EEEES1S_NSS_IJLi8ELi1ELi1ELi1EEEENSS_IJLi2ELi1ELi128ELi1EEEENSS_IJLi1ELi2ELi0ELi3EEEES1V_NSS_IJLi4ELi1ELi1ELi1EEEES1V_NSS_IJLi1ELi1ELi1ELi1EEEES1T_S1U_S1V_S1V_S1W_S1V_S1X_NSS_IJLi0ELi1ELi2ELi3ELi4ELi5EEEELi5ELi4EEEfNS5_IJPKfEEEfS8_S8_S9_NSB_INS5_IJSE_SG_SI_SG_SG_SK_SG_SM_SM_SO_SO_SQ_SG_SG_NSP_INS5_IJiNS_17integral_constantIiLi128EEEEEELb0EEENSF_INS23_IiLi1EEEEEEEENS5_IJST_SU_SV_SW_SX_SY_SZ_S10_S11_S12_S13_S14_S15_NSS_IJLi15EEEES1C_NSS_IJLi16EEEEEEENS5_IJS17_SX_SY_SZ_S18_S19_S1A_S12_S13_S15_S14_S1B_S1C_NSS_IJLi18EEEENSS_IJLi19ELi20EEEENSS_IJLi21EEEEEEENSS_IJLi18ELi19ELi20ELi21EEEElEENSB_INS5_IJSQ_SO_SO_SQ_SG_SG_S26_S28_EEENS5_IJST_SU_SV_SX_SW_SY_S18_SZ_EEENS5_IJS1I_SW_SX_S1J_S18_NSS_IJLi8EEEENSS_IJLi9ELi10EEEES12_EEENSS_IJLi8ELi9ELi10ELi11EEEElEENS5_IJNSB_INS5_IJSK_SO_SO_NSP_INS5_IJiNS23_IiLi2EEENS23_IiLi64EEEEEELb0EEES2T_EEENS5_IJST_SU_SV_SW_SX_EEENS5_IJS1I_SW_SX_NSS_IJLi5ELi6ELi7EEEENSS_IJLi8ELi9ELi10EEEEEEENSS_IJLi5ELi6ELi7ELi8ELi9ELi10EEEElEEEEES30_NS_31BlockToCTileMap_M00_N00_M01_N01ILi128ELi128ES1R_Lb0EEENS1_30ComputePtrOffsetOfStridedBatchILi1ELi1ELi1EvEELb1ELb1EEEvPKT0_S38_T1_PT2_T3_T4_T5_iT6_T7_T8_T9_T10_T11_
    .private_segment_fixed_size: 576
    .sgpr_count:     62
    .sgpr_spill_count: 0
    .symbol:         _ZN2ck16tensor_operation6device12_GLOBAL__N_137kernel_grouped_conv_fwd_dl_multiple_dINS_32GridwiseGemmDlMultipleD_km_kn_mnILi256EffNS_5TupleIJfEEEfNS0_12element_wise11PassThroughES8_NS7_7AddReluELNS_25InMemoryDataOperationEnumE0ENS_16TensorDescriptorINS5_IJNS_5EmbedINS5_IJiiiEEESD_Lb0EEENS_11PassThroughIiEENS_3PadIiiiLb0EEESG_SG_NSC_INS5_IJiiEEESJ_Lb0EEESG_NS_23Merge_v2_magic_divisionISJ_EESM_NS_8RightPadIiiLb0EEESO_NS_7UnMergeISJ_Lb0EEESG_EEENS5_IJNS_8SequenceIJLi0EEEENSS_IJLi1EEEENSS_IJLi2EEEENSS_IJLi3EEEENSS_IJLi4EEEENSS_IJLi5EEEENSS_IJLi6EEEENSS_IJLi7ELi9EEEENSS_IJLi8ELi10EEEENSS_IJLi11EEEENSS_IJLi12EEEENSS_IJLi14EEEENSS_IJLi13EEEEEEENS5_IJNSS_IJLi1ELi2ELi3EEEESX_SY_SZ_NSS_IJLi7EEEENSS_IJLi8ELi9EEEENSS_IJLi10EEEES12_S13_S15_S14_NSS_IJLi15ELi16EEEENSS_IJLi17EEEEEEENSS_IJLi15ELi17ELi16EEEElEENSB_INS5_IJSQ_SO_SO_SQ_SG_EEENS5_IJST_SU_SV_SX_SW_EEENS5_IJNSS_IJLi1ELi2EEEESW_SX_NSS_IJLi5ELi6EEEES18_EEENSS_IJLi5ELi7ELi6EEEElEENSB_INS5_IJSK_SO_SO_EEENS5_IJST_SU_SV_EEENS5_IJS1I_SW_SX_EEENSS_IJLi3ELi4EEEElEELi128ELi128ELi16ELi1ELi4ELi4ELi1ENSS_IJLi8ELi2EEEES1S_NSS_IJLi8ELi1ELi1ELi1EEEENSS_IJLi2ELi1ELi128ELi1EEEENSS_IJLi1ELi2ELi0ELi3EEEES1V_NSS_IJLi4ELi1ELi1ELi1EEEES1V_NSS_IJLi1ELi1ELi1ELi1EEEES1T_S1U_S1V_S1V_S1W_S1V_S1X_NSS_IJLi0ELi1ELi2ELi3ELi4ELi5EEEELi5ELi4EEEfNS5_IJPKfEEEfS8_S8_S9_NSB_INS5_IJSE_SG_SI_SG_SG_SK_SG_SM_SM_SO_SO_SQ_SG_SG_NSP_INS5_IJiNS_17integral_constantIiLi128EEEEEELb0EEENSF_INS23_IiLi1EEEEEEEENS5_IJST_SU_SV_SW_SX_SY_SZ_S10_S11_S12_S13_S14_S15_NSS_IJLi15EEEES1C_NSS_IJLi16EEEEEEENS5_IJS17_SX_SY_SZ_S18_S19_S1A_S12_S13_S15_S14_S1B_S1C_NSS_IJLi18EEEENSS_IJLi19ELi20EEEENSS_IJLi21EEEEEEENSS_IJLi18ELi19ELi20ELi21EEEElEENSB_INS5_IJSQ_SO_SO_SQ_SG_SG_S26_S28_EEENS5_IJST_SU_SV_SX_SW_SY_S18_SZ_EEENS5_IJS1I_SW_SX_S1J_S18_NSS_IJLi8EEEENSS_IJLi9ELi10EEEES12_EEENSS_IJLi8ELi9ELi10ELi11EEEElEENS5_IJNSB_INS5_IJSK_SO_SO_NSP_INS5_IJiNS23_IiLi2EEENS23_IiLi64EEEEEELb0EEES2T_EEENS5_IJST_SU_SV_SW_SX_EEENS5_IJS1I_SW_SX_NSS_IJLi5ELi6ELi7EEEENSS_IJLi8ELi9ELi10EEEEEEENSS_IJLi5ELi6ELi7ELi8ELi9ELi10EEEElEEEEES30_NS_31BlockToCTileMap_M00_N00_M01_N01ILi128ELi128ES1R_Lb0EEENS1_30ComputePtrOffsetOfStridedBatchILi1ELi1ELi1EvEELb1ELb1EEEvPKT0_S38_T1_PT2_T3_T4_T5_iT6_T7_T8_T9_T10_T11_.kd
    .uniform_work_group_size: 1
    .uses_dynamic_stack: false
    .vgpr_count:     140
    .vgpr_spill_count: 0
    .wavefront_size: 64
  - .agpr_count:     12
    .args:
      - .address_space:  global
        .offset:         0
        .size:           8
        .value_kind:     global_buffer
      - .address_space:  global
        .offset:         8
        .size:           8
        .value_kind:     global_buffer
      - .address_space:  global
        .offset:         16
        .size:           8
        .value_kind:     global_buffer
      - .address_space:  global
        .offset:         24
        .size:           8
        .value_kind:     global_buffer
      - .offset:         32
        .size:           1
        .value_kind:     by_value
      - .offset:         33
        .size:           1
        .value_kind:     by_value
      - .offset:         34
        .size:           1
        .value_kind:     by_value
      - .offset:         36
        .size:           4
        .value_kind:     by_value
      - .offset:         40
        .size:           200
        .value_kind:     by_value
      - .offset:         240
        .size:           96
        .value_kind:     by_value
      - .offset:         336
        .size:           80
        .value_kind:     by_value
      - .offset:         416
        .size:           80
        .value_kind:     by_value
      - .offset:         496
        .size:           112
        .value_kind:     by_value
      - .offset:         608
        .size:           40
        .value_kind:     by_value
      - .offset:         648
        .size:           4
        .value_kind:     hidden_block_count_x
      - .offset:         652
        .size:           4
        .value_kind:     hidden_block_count_y
      - .offset:         656
        .size:           4
        .value_kind:     hidden_block_count_z
      - .offset:         660
        .size:           2
        .value_kind:     hidden_group_size_x
      - .offset:         662
        .size:           2
        .value_kind:     hidden_group_size_y
      - .offset:         664
        .size:           2
        .value_kind:     hidden_group_size_z
      - .offset:         666
        .size:           2
        .value_kind:     hidden_remainder_x
      - .offset:         668
        .size:           2
        .value_kind:     hidden_remainder_y
      - .offset:         670
        .size:           2
        .value_kind:     hidden_remainder_z
      - .offset:         688
        .size:           8
        .value_kind:     hidden_global_offset_x
      - .offset:         696
        .size:           8
        .value_kind:     hidden_global_offset_y
      - .offset:         704
        .size:           8
        .value_kind:     hidden_global_offset_z
      - .offset:         712
        .size:           2
        .value_kind:     hidden_grid_dims
    .group_segment_fixed_size: 32768
    .kernarg_segment_align: 8
    .kernarg_segment_size: 904
    .language:       OpenCL C
    .language_version:
      - 2
      - 0
    .max_flat_workgroup_size: 256
    .name:           _ZN2ck16tensor_operation6device12_GLOBAL__N_137kernel_grouped_conv_fwd_dl_multiple_dINS_32GridwiseGemmDlMultipleD_km_kn_mnILi256EffNS_5TupleIJfEEEfNS0_12element_wise11PassThroughES8_NS7_7AddReluELNS_25InMemoryDataOperationEnumE0ENS_16TensorDescriptorINS5_IJNS_5EmbedINS5_IJiiiEEESD_Lb0EEENS_11PassThroughIiEENS_3PadIiiiLb0EEESG_SG_NSC_INS5_IJiiEEESJ_Lb0EEESG_NS_23Merge_v2_magic_divisionISJ_EESM_NS_8RightPadIiiLb0EEESO_NS_7UnMergeISJ_Lb0EEESG_EEENS5_IJNS_8SequenceIJLi0EEEENSS_IJLi1EEEENSS_IJLi2EEEENSS_IJLi3EEEENSS_IJLi4EEEENSS_IJLi5EEEENSS_IJLi6EEEENSS_IJLi7ELi9EEEENSS_IJLi8ELi10EEEENSS_IJLi11EEEENSS_IJLi12EEEENSS_IJLi14EEEENSS_IJLi13EEEEEEENS5_IJNSS_IJLi1ELi2ELi3EEEESX_SY_SZ_NSS_IJLi7EEEENSS_IJLi8ELi9EEEENSS_IJLi10EEEES12_S13_S15_S14_NSS_IJLi15ELi16EEEENSS_IJLi17EEEEEEENSS_IJLi15ELi17ELi16EEEElEENSB_INS5_IJSQ_SO_SO_SQ_SG_EEENS5_IJST_SU_SV_SX_SW_EEENS5_IJNSS_IJLi1ELi2EEEESW_SX_NSS_IJLi5ELi6EEEES18_EEENSS_IJLi5ELi7ELi6EEEElEENSB_INS5_IJSK_SO_SO_EEENS5_IJST_SU_SV_EEENS5_IJS1I_SW_SX_EEENSS_IJLi3ELi4EEEElEELi128ELi128ELi16ELi1ELi4ELi4ELi1ENSS_IJLi8ELi2EEEES1S_NSS_IJLi8ELi1ELi1ELi1EEEENSS_IJLi2ELi1ELi128ELi1EEEENSS_IJLi1ELi2ELi0ELi3EEEES1V_NSS_IJLi4ELi1ELi1ELi1EEEES1V_NSS_IJLi1ELi1ELi1ELi1EEEES1T_S1U_S1V_S1V_S1W_S1V_S1X_NSS_IJLi0ELi1ELi2ELi3ELi4ELi5EEEELi5ELi4EEEfNS5_IJPKfEEEfS8_S8_S9_NSB_INS5_IJSE_SG_SI_SG_SG_SK_SG_SM_SM_SO_SO_SQ_SG_SG_NSP_INS5_IJiNS_17integral_constantIiLi128EEEEEELb0EEENSF_INS23_IiLi1EEEEEEEENS5_IJST_SU_SV_SW_SX_SY_SZ_S10_S11_S12_S13_S14_S15_NSS_IJLi15EEEES1C_NSS_IJLi16EEEEEEENS5_IJS17_SX_SY_SZ_S18_S19_S1A_S12_S13_S15_S14_S1B_S1C_NSS_IJLi18EEEENSS_IJLi19ELi20EEEENSS_IJLi21EEEEEEENSS_IJLi18ELi19ELi20ELi21EEEElEENSB_INS5_IJSQ_SO_SO_SQ_SG_SG_S26_S28_EEENS5_IJST_SU_SV_SX_SW_SY_S18_SZ_EEENS5_IJS1I_SW_SX_S1J_S18_NSS_IJLi8EEEENSS_IJLi9ELi10EEEES12_EEENSS_IJLi8ELi9ELi10ELi11EEEElEENS5_IJNSB_INS5_IJSK_SO_SO_NSP_INS5_IJiNS23_IiLi2EEENS23_IiLi64EEEEEELb0EEES2T_EEENS5_IJST_SU_SV_SW_SX_EEENS5_IJS1I_SW_SX_NSS_IJLi5ELi6ELi7EEEENSS_IJLi8ELi9ELi10EEEEEEENSS_IJLi5ELi6ELi7ELi8ELi9ELi10EEEElEEEEES30_NS_31BlockToCTileMap_M00_N00_M01_N01ILi128ELi128ES1R_Lb0EEENS1_30ComputePtrOffsetOfStridedBatchILi1ELi1ELi1EvEELb1ELb0EEEvPKT0_S38_T1_PT2_T3_T4_T5_iT6_T7_T8_T9_T10_T11_
    .private_segment_fixed_size: 576
    .sgpr_count:     62
    .sgpr_spill_count: 0
    .symbol:         _ZN2ck16tensor_operation6device12_GLOBAL__N_137kernel_grouped_conv_fwd_dl_multiple_dINS_32GridwiseGemmDlMultipleD_km_kn_mnILi256EffNS_5TupleIJfEEEfNS0_12element_wise11PassThroughES8_NS7_7AddReluELNS_25InMemoryDataOperationEnumE0ENS_16TensorDescriptorINS5_IJNS_5EmbedINS5_IJiiiEEESD_Lb0EEENS_11PassThroughIiEENS_3PadIiiiLb0EEESG_SG_NSC_INS5_IJiiEEESJ_Lb0EEESG_NS_23Merge_v2_magic_divisionISJ_EESM_NS_8RightPadIiiLb0EEESO_NS_7UnMergeISJ_Lb0EEESG_EEENS5_IJNS_8SequenceIJLi0EEEENSS_IJLi1EEEENSS_IJLi2EEEENSS_IJLi3EEEENSS_IJLi4EEEENSS_IJLi5EEEENSS_IJLi6EEEENSS_IJLi7ELi9EEEENSS_IJLi8ELi10EEEENSS_IJLi11EEEENSS_IJLi12EEEENSS_IJLi14EEEENSS_IJLi13EEEEEEENS5_IJNSS_IJLi1ELi2ELi3EEEESX_SY_SZ_NSS_IJLi7EEEENSS_IJLi8ELi9EEEENSS_IJLi10EEEES12_S13_S15_S14_NSS_IJLi15ELi16EEEENSS_IJLi17EEEEEEENSS_IJLi15ELi17ELi16EEEElEENSB_INS5_IJSQ_SO_SO_SQ_SG_EEENS5_IJST_SU_SV_SX_SW_EEENS5_IJNSS_IJLi1ELi2EEEESW_SX_NSS_IJLi5ELi6EEEES18_EEENSS_IJLi5ELi7ELi6EEEElEENSB_INS5_IJSK_SO_SO_EEENS5_IJST_SU_SV_EEENS5_IJS1I_SW_SX_EEENSS_IJLi3ELi4EEEElEELi128ELi128ELi16ELi1ELi4ELi4ELi1ENSS_IJLi8ELi2EEEES1S_NSS_IJLi8ELi1ELi1ELi1EEEENSS_IJLi2ELi1ELi128ELi1EEEENSS_IJLi1ELi2ELi0ELi3EEEES1V_NSS_IJLi4ELi1ELi1ELi1EEEES1V_NSS_IJLi1ELi1ELi1ELi1EEEES1T_S1U_S1V_S1V_S1W_S1V_S1X_NSS_IJLi0ELi1ELi2ELi3ELi4ELi5EEEELi5ELi4EEEfNS5_IJPKfEEEfS8_S8_S9_NSB_INS5_IJSE_SG_SI_SG_SG_SK_SG_SM_SM_SO_SO_SQ_SG_SG_NSP_INS5_IJiNS_17integral_constantIiLi128EEEEEELb0EEENSF_INS23_IiLi1EEEEEEEENS5_IJST_SU_SV_SW_SX_SY_SZ_S10_S11_S12_S13_S14_S15_NSS_IJLi15EEEES1C_NSS_IJLi16EEEEEEENS5_IJS17_SX_SY_SZ_S18_S19_S1A_S12_S13_S15_S14_S1B_S1C_NSS_IJLi18EEEENSS_IJLi19ELi20EEEENSS_IJLi21EEEEEEENSS_IJLi18ELi19ELi20ELi21EEEElEENSB_INS5_IJSQ_SO_SO_SQ_SG_SG_S26_S28_EEENS5_IJST_SU_SV_SX_SW_SY_S18_SZ_EEENS5_IJS1I_SW_SX_S1J_S18_NSS_IJLi8EEEENSS_IJLi9ELi10EEEES12_EEENSS_IJLi8ELi9ELi10ELi11EEEElEENS5_IJNSB_INS5_IJSK_SO_SO_NSP_INS5_IJiNS23_IiLi2EEENS23_IiLi64EEEEEELb0EEES2T_EEENS5_IJST_SU_SV_SW_SX_EEENS5_IJS1I_SW_SX_NSS_IJLi5ELi6ELi7EEEENSS_IJLi8ELi9ELi10EEEEEEENSS_IJLi5ELi6ELi7ELi8ELi9ELi10EEEElEEEEES30_NS_31BlockToCTileMap_M00_N00_M01_N01ILi128ELi128ES1R_Lb0EEENS1_30ComputePtrOffsetOfStridedBatchILi1ELi1ELi1EvEELb1ELb0EEEvPKT0_S38_T1_PT2_T3_T4_T5_iT6_T7_T8_T9_T10_T11_.kd
    .uniform_work_group_size: 1
    .uses_dynamic_stack: false
    .vgpr_count:     140
    .vgpr_spill_count: 0
    .wavefront_size: 64
  - .agpr_count:     0
    .args:
      - .address_space:  global
        .offset:         0
        .size:           8
        .value_kind:     global_buffer
      - .address_space:  global
        .offset:         8
        .size:           8
        .value_kind:     global_buffer
      - .address_space:  global
        .offset:         16
        .size:           8
        .value_kind:     global_buffer
      - .address_space:  global
        .offset:         24
        .size:           8
        .value_kind:     global_buffer
      - .offset:         32
        .size:           1
        .value_kind:     by_value
      - .offset:         33
        .size:           1
        .value_kind:     by_value
      - .offset:         34
        .size:           1
        .value_kind:     by_value
      - .offset:         36
        .size:           4
        .value_kind:     by_value
      - .offset:         40
        .size:           200
        .value_kind:     by_value
      - .offset:         240
        .size:           96
        .value_kind:     by_value
      - .offset:         336
        .size:           80
        .value_kind:     by_value
      - .offset:         416
        .size:           80
        .value_kind:     by_value
      - .offset:         496
        .size:           112
        .value_kind:     by_value
      - .offset:         608
        .size:           40
        .value_kind:     by_value
      - .offset:         648
        .size:           4
        .value_kind:     hidden_block_count_x
      - .offset:         652
        .size:           4
        .value_kind:     hidden_block_count_y
      - .offset:         656
        .size:           4
        .value_kind:     hidden_block_count_z
      - .offset:         660
        .size:           2
        .value_kind:     hidden_group_size_x
      - .offset:         662
        .size:           2
        .value_kind:     hidden_group_size_y
      - .offset:         664
        .size:           2
        .value_kind:     hidden_group_size_z
      - .offset:         666
        .size:           2
        .value_kind:     hidden_remainder_x
      - .offset:         668
        .size:           2
        .value_kind:     hidden_remainder_y
      - .offset:         670
        .size:           2
        .value_kind:     hidden_remainder_z
      - .offset:         688
        .size:           8
        .value_kind:     hidden_global_offset_x
      - .offset:         696
        .size:           8
        .value_kind:     hidden_global_offset_y
      - .offset:         704
        .size:           8
        .value_kind:     hidden_global_offset_z
      - .offset:         712
        .size:           2
        .value_kind:     hidden_grid_dims
    .group_segment_fixed_size: 32768
    .kernarg_segment_align: 8
    .kernarg_segment_size: 904
    .language:       OpenCL C
    .language_version:
      - 2
      - 0
    .max_flat_workgroup_size: 256
    .name:           _ZN2ck16tensor_operation6device12_GLOBAL__N_137kernel_grouped_conv_fwd_dl_multiple_dINS_32GridwiseGemmDlMultipleD_km_kn_mnILi256EffNS_5TupleIJfEEEfNS0_12element_wise11PassThroughES8_NS7_7AddReluELNS_25InMemoryDataOperationEnumE0ENS_16TensorDescriptorINS5_IJNS_5EmbedINS5_IJiiiEEESD_Lb0EEENS_11PassThroughIiEENS_3PadIiiiLb0EEESG_SG_NSC_INS5_IJiiEEESJ_Lb0EEESG_NS_23Merge_v2_magic_divisionISJ_EESM_NS_8RightPadIiiLb0EEESO_NS_7UnMergeISJ_Lb0EEESG_EEENS5_IJNS_8SequenceIJLi0EEEENSS_IJLi1EEEENSS_IJLi2EEEENSS_IJLi3EEEENSS_IJLi4EEEENSS_IJLi5EEEENSS_IJLi6EEEENSS_IJLi7ELi9EEEENSS_IJLi8ELi10EEEENSS_IJLi11EEEENSS_IJLi12EEEENSS_IJLi14EEEENSS_IJLi13EEEEEEENS5_IJNSS_IJLi1ELi2ELi3EEEESX_SY_SZ_NSS_IJLi7EEEENSS_IJLi8ELi9EEEENSS_IJLi10EEEES12_S13_S15_S14_NSS_IJLi15ELi16EEEENSS_IJLi17EEEEEEENSS_IJLi15ELi17ELi16EEEElEENSB_INS5_IJSQ_SO_SO_SQ_SG_EEENS5_IJST_SU_SV_SX_SW_EEENS5_IJNSS_IJLi1ELi2EEEESW_SX_NSS_IJLi5ELi6EEEES18_EEENSS_IJLi5ELi7ELi6EEEElEENSB_INS5_IJSK_SO_SO_EEENS5_IJST_SU_SV_EEENS5_IJS1I_SW_SX_EEENSS_IJLi3ELi4EEEElEELi128ELi128ELi16ELi1ELi4ELi4ELi1ENSS_IJLi8ELi2EEEES1S_NSS_IJLi8ELi1ELi1ELi1EEEENSS_IJLi2ELi1ELi128ELi1EEEENSS_IJLi1ELi2ELi0ELi3EEEES1V_NSS_IJLi4ELi1ELi1ELi1EEEES1V_NSS_IJLi1ELi1ELi1ELi1EEEES1T_S1U_S1V_S1V_S1W_S1V_S1X_NSS_IJLi0ELi1ELi2ELi3ELi4ELi5EEEELi5ELi4EEEfNS5_IJPKfEEEfS8_S8_S9_NSB_INS5_IJSE_SG_SI_SG_SG_SK_SG_SM_SM_SO_SO_SQ_SG_SG_NSP_INS5_IJiNS_17integral_constantIiLi128EEEEEELb0EEENSF_INS23_IiLi1EEEEEEEENS5_IJST_SU_SV_SW_SX_SY_SZ_S10_S11_S12_S13_S14_S15_NSS_IJLi15EEEES1C_NSS_IJLi16EEEEEEENS5_IJS17_SX_SY_SZ_S18_S19_S1A_S12_S13_S15_S14_S1B_S1C_NSS_IJLi18EEEENSS_IJLi19ELi20EEEENSS_IJLi21EEEEEEENSS_IJLi18ELi19ELi20ELi21EEEElEENSB_INS5_IJSQ_SO_SO_SQ_SG_SG_S26_S28_EEENS5_IJST_SU_SV_SX_SW_SY_S18_SZ_EEENS5_IJS1I_SW_SX_S1J_S18_NSS_IJLi8EEEENSS_IJLi9ELi10EEEES12_EEENSS_IJLi8ELi9ELi10ELi11EEEElEENS5_IJNSB_INS5_IJSK_SO_SO_NSP_INS5_IJiNS23_IiLi2EEENS23_IiLi64EEEEEELb0EEES2T_EEENS5_IJST_SU_SV_SW_SX_EEENS5_IJS1I_SW_SX_NSS_IJLi5ELi6ELi7EEEENSS_IJLi8ELi9ELi10EEEEEEENSS_IJLi5ELi6ELi7ELi8ELi9ELi10EEEElEEEEES30_NS_31BlockToCTileMap_M00_N00_M01_N01ILi128ELi128ES1R_Lb0EEENS1_30ComputePtrOffsetOfStridedBatchILi1ELi1ELi1EvEELb0ELb1EEEvPKT0_S38_T1_PT2_T3_T4_T5_iT6_T7_T8_T9_T10_T11_
    .private_segment_fixed_size: 0
    .sgpr_count:     66
    .sgpr_spill_count: 0
    .symbol:         _ZN2ck16tensor_operation6device12_GLOBAL__N_137kernel_grouped_conv_fwd_dl_multiple_dINS_32GridwiseGemmDlMultipleD_km_kn_mnILi256EffNS_5TupleIJfEEEfNS0_12element_wise11PassThroughES8_NS7_7AddReluELNS_25InMemoryDataOperationEnumE0ENS_16TensorDescriptorINS5_IJNS_5EmbedINS5_IJiiiEEESD_Lb0EEENS_11PassThroughIiEENS_3PadIiiiLb0EEESG_SG_NSC_INS5_IJiiEEESJ_Lb0EEESG_NS_23Merge_v2_magic_divisionISJ_EESM_NS_8RightPadIiiLb0EEESO_NS_7UnMergeISJ_Lb0EEESG_EEENS5_IJNS_8SequenceIJLi0EEEENSS_IJLi1EEEENSS_IJLi2EEEENSS_IJLi3EEEENSS_IJLi4EEEENSS_IJLi5EEEENSS_IJLi6EEEENSS_IJLi7ELi9EEEENSS_IJLi8ELi10EEEENSS_IJLi11EEEENSS_IJLi12EEEENSS_IJLi14EEEENSS_IJLi13EEEEEEENS5_IJNSS_IJLi1ELi2ELi3EEEESX_SY_SZ_NSS_IJLi7EEEENSS_IJLi8ELi9EEEENSS_IJLi10EEEES12_S13_S15_S14_NSS_IJLi15ELi16EEEENSS_IJLi17EEEEEEENSS_IJLi15ELi17ELi16EEEElEENSB_INS5_IJSQ_SO_SO_SQ_SG_EEENS5_IJST_SU_SV_SX_SW_EEENS5_IJNSS_IJLi1ELi2EEEESW_SX_NSS_IJLi5ELi6EEEES18_EEENSS_IJLi5ELi7ELi6EEEElEENSB_INS5_IJSK_SO_SO_EEENS5_IJST_SU_SV_EEENS5_IJS1I_SW_SX_EEENSS_IJLi3ELi4EEEElEELi128ELi128ELi16ELi1ELi4ELi4ELi1ENSS_IJLi8ELi2EEEES1S_NSS_IJLi8ELi1ELi1ELi1EEEENSS_IJLi2ELi1ELi128ELi1EEEENSS_IJLi1ELi2ELi0ELi3EEEES1V_NSS_IJLi4ELi1ELi1ELi1EEEES1V_NSS_IJLi1ELi1ELi1ELi1EEEES1T_S1U_S1V_S1V_S1W_S1V_S1X_NSS_IJLi0ELi1ELi2ELi3ELi4ELi5EEEELi5ELi4EEEfNS5_IJPKfEEEfS8_S8_S9_NSB_INS5_IJSE_SG_SI_SG_SG_SK_SG_SM_SM_SO_SO_SQ_SG_SG_NSP_INS5_IJiNS_17integral_constantIiLi128EEEEEELb0EEENSF_INS23_IiLi1EEEEEEEENS5_IJST_SU_SV_SW_SX_SY_SZ_S10_S11_S12_S13_S14_S15_NSS_IJLi15EEEES1C_NSS_IJLi16EEEEEEENS5_IJS17_SX_SY_SZ_S18_S19_S1A_S12_S13_S15_S14_S1B_S1C_NSS_IJLi18EEEENSS_IJLi19ELi20EEEENSS_IJLi21EEEEEEENSS_IJLi18ELi19ELi20ELi21EEEElEENSB_INS5_IJSQ_SO_SO_SQ_SG_SG_S26_S28_EEENS5_IJST_SU_SV_SX_SW_SY_S18_SZ_EEENS5_IJS1I_SW_SX_S1J_S18_NSS_IJLi8EEEENSS_IJLi9ELi10EEEES12_EEENSS_IJLi8ELi9ELi10ELi11EEEElEENS5_IJNSB_INS5_IJSK_SO_SO_NSP_INS5_IJiNS23_IiLi2EEENS23_IiLi64EEEEEELb0EEES2T_EEENS5_IJST_SU_SV_SW_SX_EEENS5_IJS1I_SW_SX_NSS_IJLi5ELi6ELi7EEEENSS_IJLi8ELi9ELi10EEEEEEENSS_IJLi5ELi6ELi7ELi8ELi9ELi10EEEElEEEEES30_NS_31BlockToCTileMap_M00_N00_M01_N01ILi128ELi128ES1R_Lb0EEENS1_30ComputePtrOffsetOfStridedBatchILi1ELi1ELi1EvEELb0ELb1EEEvPKT0_S38_T1_PT2_T3_T4_T5_iT6_T7_T8_T9_T10_T11_.kd
    .uniform_work_group_size: 1
    .uses_dynamic_stack: false
    .vgpr_count:     105
    .vgpr_spill_count: 0
    .wavefront_size: 64
  - .agpr_count:     0
    .args:
      - .address_space:  global
        .offset:         0
        .size:           8
        .value_kind:     global_buffer
      - .address_space:  global
        .offset:         8
        .size:           8
        .value_kind:     global_buffer
      - .address_space:  global
        .offset:         16
        .size:           8
        .value_kind:     global_buffer
      - .address_space:  global
        .offset:         24
        .size:           8
        .value_kind:     global_buffer
      - .offset:         32
        .size:           1
        .value_kind:     by_value
      - .offset:         33
        .size:           1
        .value_kind:     by_value
      - .offset:         34
        .size:           1
        .value_kind:     by_value
      - .offset:         36
        .size:           4
        .value_kind:     by_value
      - .offset:         40
        .size:           200
        .value_kind:     by_value
      - .offset:         240
        .size:           96
        .value_kind:     by_value
      - .offset:         336
        .size:           80
        .value_kind:     by_value
      - .offset:         416
        .size:           80
        .value_kind:     by_value
      - .offset:         496
        .size:           112
        .value_kind:     by_value
      - .offset:         608
        .size:           40
        .value_kind:     by_value
      - .offset:         648
        .size:           4
        .value_kind:     hidden_block_count_x
      - .offset:         652
        .size:           4
        .value_kind:     hidden_block_count_y
      - .offset:         656
        .size:           4
        .value_kind:     hidden_block_count_z
      - .offset:         660
        .size:           2
        .value_kind:     hidden_group_size_x
      - .offset:         662
        .size:           2
        .value_kind:     hidden_group_size_y
      - .offset:         664
        .size:           2
        .value_kind:     hidden_group_size_z
      - .offset:         666
        .size:           2
        .value_kind:     hidden_remainder_x
      - .offset:         668
        .size:           2
        .value_kind:     hidden_remainder_y
      - .offset:         670
        .size:           2
        .value_kind:     hidden_remainder_z
      - .offset:         688
        .size:           8
        .value_kind:     hidden_global_offset_x
      - .offset:         696
        .size:           8
        .value_kind:     hidden_global_offset_y
      - .offset:         704
        .size:           8
        .value_kind:     hidden_global_offset_z
      - .offset:         712
        .size:           2
        .value_kind:     hidden_grid_dims
    .group_segment_fixed_size: 32768
    .kernarg_segment_align: 8
    .kernarg_segment_size: 904
    .language:       OpenCL C
    .language_version:
      - 2
      - 0
    .max_flat_workgroup_size: 256
    .name:           _ZN2ck16tensor_operation6device12_GLOBAL__N_137kernel_grouped_conv_fwd_dl_multiple_dINS_32GridwiseGemmDlMultipleD_km_kn_mnILi256EffNS_5TupleIJfEEEfNS0_12element_wise11PassThroughES8_NS7_7AddReluELNS_25InMemoryDataOperationEnumE0ENS_16TensorDescriptorINS5_IJNS_5EmbedINS5_IJiiiEEESD_Lb0EEENS_11PassThroughIiEENS_3PadIiiiLb0EEESG_SG_NSC_INS5_IJiiEEESJ_Lb0EEESG_NS_23Merge_v2_magic_divisionISJ_EESM_NS_8RightPadIiiLb0EEESO_NS_7UnMergeISJ_Lb0EEESG_EEENS5_IJNS_8SequenceIJLi0EEEENSS_IJLi1EEEENSS_IJLi2EEEENSS_IJLi3EEEENSS_IJLi4EEEENSS_IJLi5EEEENSS_IJLi6EEEENSS_IJLi7ELi9EEEENSS_IJLi8ELi10EEEENSS_IJLi11EEEENSS_IJLi12EEEENSS_IJLi14EEEENSS_IJLi13EEEEEEENS5_IJNSS_IJLi1ELi2ELi3EEEESX_SY_SZ_NSS_IJLi7EEEENSS_IJLi8ELi9EEEENSS_IJLi10EEEES12_S13_S15_S14_NSS_IJLi15ELi16EEEENSS_IJLi17EEEEEEENSS_IJLi15ELi17ELi16EEEElEENSB_INS5_IJSQ_SO_SO_SQ_SG_EEENS5_IJST_SU_SV_SX_SW_EEENS5_IJNSS_IJLi1ELi2EEEESW_SX_NSS_IJLi5ELi6EEEES18_EEENSS_IJLi5ELi7ELi6EEEElEENSB_INS5_IJSK_SO_SO_EEENS5_IJST_SU_SV_EEENS5_IJS1I_SW_SX_EEENSS_IJLi3ELi4EEEElEELi128ELi128ELi16ELi1ELi4ELi4ELi1ENSS_IJLi8ELi2EEEES1S_NSS_IJLi8ELi1ELi1ELi1EEEENSS_IJLi2ELi1ELi128ELi1EEEENSS_IJLi1ELi2ELi0ELi3EEEES1V_NSS_IJLi4ELi1ELi1ELi1EEEES1V_NSS_IJLi1ELi1ELi1ELi1EEEES1T_S1U_S1V_S1V_S1W_S1V_S1X_NSS_IJLi0ELi1ELi2ELi3ELi4ELi5EEEELi5ELi4EEEfNS5_IJPKfEEEfS8_S8_S9_NSB_INS5_IJSE_SG_SI_SG_SG_SK_SG_SM_SM_SO_SO_SQ_SG_SG_NSP_INS5_IJiNS_17integral_constantIiLi128EEEEEELb0EEENSF_INS23_IiLi1EEEEEEEENS5_IJST_SU_SV_SW_SX_SY_SZ_S10_S11_S12_S13_S14_S15_NSS_IJLi15EEEES1C_NSS_IJLi16EEEEEEENS5_IJS17_SX_SY_SZ_S18_S19_S1A_S12_S13_S15_S14_S1B_S1C_NSS_IJLi18EEEENSS_IJLi19ELi20EEEENSS_IJLi21EEEEEEENSS_IJLi18ELi19ELi20ELi21EEEElEENSB_INS5_IJSQ_SO_SO_SQ_SG_SG_S26_S28_EEENS5_IJST_SU_SV_SX_SW_SY_S18_SZ_EEENS5_IJS1I_SW_SX_S1J_S18_NSS_IJLi8EEEENSS_IJLi9ELi10EEEES12_EEENSS_IJLi8ELi9ELi10ELi11EEEElEENS5_IJNSB_INS5_IJSK_SO_SO_NSP_INS5_IJiNS23_IiLi2EEENS23_IiLi64EEEEEELb0EEES2T_EEENS5_IJST_SU_SV_SW_SX_EEENS5_IJS1I_SW_SX_NSS_IJLi5ELi6ELi7EEEENSS_IJLi8ELi9ELi10EEEEEEENSS_IJLi5ELi6ELi7ELi8ELi9ELi10EEEElEEEEES30_NS_31BlockToCTileMap_M00_N00_M01_N01ILi128ELi128ES1R_Lb0EEENS1_30ComputePtrOffsetOfStridedBatchILi1ELi1ELi1EvEELb0ELb0EEEvPKT0_S38_T1_PT2_T3_T4_T5_iT6_T7_T8_T9_T10_T11_
    .private_segment_fixed_size: 0
    .sgpr_count:     66
    .sgpr_spill_count: 0
    .symbol:         _ZN2ck16tensor_operation6device12_GLOBAL__N_137kernel_grouped_conv_fwd_dl_multiple_dINS_32GridwiseGemmDlMultipleD_km_kn_mnILi256EffNS_5TupleIJfEEEfNS0_12element_wise11PassThroughES8_NS7_7AddReluELNS_25InMemoryDataOperationEnumE0ENS_16TensorDescriptorINS5_IJNS_5EmbedINS5_IJiiiEEESD_Lb0EEENS_11PassThroughIiEENS_3PadIiiiLb0EEESG_SG_NSC_INS5_IJiiEEESJ_Lb0EEESG_NS_23Merge_v2_magic_divisionISJ_EESM_NS_8RightPadIiiLb0EEESO_NS_7UnMergeISJ_Lb0EEESG_EEENS5_IJNS_8SequenceIJLi0EEEENSS_IJLi1EEEENSS_IJLi2EEEENSS_IJLi3EEEENSS_IJLi4EEEENSS_IJLi5EEEENSS_IJLi6EEEENSS_IJLi7ELi9EEEENSS_IJLi8ELi10EEEENSS_IJLi11EEEENSS_IJLi12EEEENSS_IJLi14EEEENSS_IJLi13EEEEEEENS5_IJNSS_IJLi1ELi2ELi3EEEESX_SY_SZ_NSS_IJLi7EEEENSS_IJLi8ELi9EEEENSS_IJLi10EEEES12_S13_S15_S14_NSS_IJLi15ELi16EEEENSS_IJLi17EEEEEEENSS_IJLi15ELi17ELi16EEEElEENSB_INS5_IJSQ_SO_SO_SQ_SG_EEENS5_IJST_SU_SV_SX_SW_EEENS5_IJNSS_IJLi1ELi2EEEESW_SX_NSS_IJLi5ELi6EEEES18_EEENSS_IJLi5ELi7ELi6EEEElEENSB_INS5_IJSK_SO_SO_EEENS5_IJST_SU_SV_EEENS5_IJS1I_SW_SX_EEENSS_IJLi3ELi4EEEElEELi128ELi128ELi16ELi1ELi4ELi4ELi1ENSS_IJLi8ELi2EEEES1S_NSS_IJLi8ELi1ELi1ELi1EEEENSS_IJLi2ELi1ELi128ELi1EEEENSS_IJLi1ELi2ELi0ELi3EEEES1V_NSS_IJLi4ELi1ELi1ELi1EEEES1V_NSS_IJLi1ELi1ELi1ELi1EEEES1T_S1U_S1V_S1V_S1W_S1V_S1X_NSS_IJLi0ELi1ELi2ELi3ELi4ELi5EEEELi5ELi4EEEfNS5_IJPKfEEEfS8_S8_S9_NSB_INS5_IJSE_SG_SI_SG_SG_SK_SG_SM_SM_SO_SO_SQ_SG_SG_NSP_INS5_IJiNS_17integral_constantIiLi128EEEEEELb0EEENSF_INS23_IiLi1EEEEEEEENS5_IJST_SU_SV_SW_SX_SY_SZ_S10_S11_S12_S13_S14_S15_NSS_IJLi15EEEES1C_NSS_IJLi16EEEEEEENS5_IJS17_SX_SY_SZ_S18_S19_S1A_S12_S13_S15_S14_S1B_S1C_NSS_IJLi18EEEENSS_IJLi19ELi20EEEENSS_IJLi21EEEEEEENSS_IJLi18ELi19ELi20ELi21EEEElEENSB_INS5_IJSQ_SO_SO_SQ_SG_SG_S26_S28_EEENS5_IJST_SU_SV_SX_SW_SY_S18_SZ_EEENS5_IJS1I_SW_SX_S1J_S18_NSS_IJLi8EEEENSS_IJLi9ELi10EEEES12_EEENSS_IJLi8ELi9ELi10ELi11EEEElEENS5_IJNSB_INS5_IJSK_SO_SO_NSP_INS5_IJiNS23_IiLi2EEENS23_IiLi64EEEEEELb0EEES2T_EEENS5_IJST_SU_SV_SW_SX_EEENS5_IJS1I_SW_SX_NSS_IJLi5ELi6ELi7EEEENSS_IJLi8ELi9ELi10EEEEEEENSS_IJLi5ELi6ELi7ELi8ELi9ELi10EEEElEEEEES30_NS_31BlockToCTileMap_M00_N00_M01_N01ILi128ELi128ES1R_Lb0EEENS1_30ComputePtrOffsetOfStridedBatchILi1ELi1ELi1EvEELb0ELb0EEEvPKT0_S38_T1_PT2_T3_T4_T5_iT6_T7_T8_T9_T10_T11_.kd
    .uniform_work_group_size: 1
    .uses_dynamic_stack: false
    .vgpr_count:     105
    .vgpr_spill_count: 0
    .wavefront_size: 64
  - .agpr_count:     14
    .args:
      - .address_space:  global
        .offset:         0
        .size:           8
        .value_kind:     global_buffer
      - .address_space:  global
        .offset:         8
        .size:           8
        .value_kind:     global_buffer
      - .address_space:  global
        .offset:         16
        .size:           8
        .value_kind:     global_buffer
      - .address_space:  global
        .offset:         24
        .size:           8
        .value_kind:     global_buffer
      - .offset:         32
        .size:           1
        .value_kind:     by_value
      - .offset:         33
        .size:           1
        .value_kind:     by_value
      - .offset:         34
        .size:           1
        .value_kind:     by_value
      - .offset:         36
        .size:           4
        .value_kind:     by_value
      - .offset:         40
        .size:           264
        .value_kind:     by_value
      - .offset:         304
        .size:           96
        .value_kind:     by_value
      - .offset:         400
        .size:           80
        .value_kind:     by_value
      - .offset:         480
        .size:           80
        .value_kind:     by_value
      - .offset:         560
        .size:           112
        .value_kind:     by_value
      - .offset:         672
        .size:           40
        .value_kind:     by_value
      - .offset:         712
        .size:           4
        .value_kind:     hidden_block_count_x
      - .offset:         716
        .size:           4
        .value_kind:     hidden_block_count_y
      - .offset:         720
        .size:           4
        .value_kind:     hidden_block_count_z
      - .offset:         724
        .size:           2
        .value_kind:     hidden_group_size_x
      - .offset:         726
        .size:           2
        .value_kind:     hidden_group_size_y
      - .offset:         728
        .size:           2
        .value_kind:     hidden_group_size_z
      - .offset:         730
        .size:           2
        .value_kind:     hidden_remainder_x
      - .offset:         732
        .size:           2
        .value_kind:     hidden_remainder_y
      - .offset:         734
        .size:           2
        .value_kind:     hidden_remainder_z
      - .offset:         752
        .size:           8
        .value_kind:     hidden_global_offset_x
      - .offset:         760
        .size:           8
        .value_kind:     hidden_global_offset_y
      - .offset:         768
        .size:           8
        .value_kind:     hidden_global_offset_z
      - .offset:         776
        .size:           2
        .value_kind:     hidden_grid_dims
    .group_segment_fixed_size: 32768
    .kernarg_segment_align: 8
    .kernarg_segment_size: 968
    .language:       OpenCL C
    .language_version:
      - 2
      - 0
    .max_flat_workgroup_size: 256
    .name:           _ZN2ck16tensor_operation6device12_GLOBAL__N_137kernel_grouped_conv_fwd_dl_multiple_dINS_32GridwiseGemmDlMultipleD_km_kn_mnILi256EffNS_5TupleIJfEEEfNS0_12element_wise11PassThroughES8_NS7_7AddReluELNS_25InMemoryDataOperationEnumE0ENS_16TensorDescriptorINS5_IJNS_5EmbedINS5_IJiiiiEEESD_Lb0EEENS_11PassThroughIiEENS_3PadIiiiLb0EEESI_SG_SG_NSC_INS5_IJiiEEESJ_Lb0EEESK_SG_NS_23Merge_v2_magic_divisionINS5_IJiiiEEEEESN_NS_8RightPadIiiLb0EEESP_NS_7UnMergeISJ_Lb0EEESG_EEENS5_IJNS_8SequenceIJLi0EEEENST_IJLi1EEEENST_IJLi2EEEENST_IJLi3EEEENST_IJLi4EEEENST_IJLi5EEEENST_IJLi6EEEENST_IJLi7EEEENST_IJLi8EEEENST_IJLi9ELi11ELi13EEEENST_IJLi10ELi12ELi14EEEENST_IJLi15EEEENST_IJLi16EEEENST_IJLi18EEEENST_IJLi17EEEEEEENS5_IJNST_IJLi1ELi2ELi3ELi4EEEESZ_S10_S11_S12_NST_IJLi9EEEENST_IJLi10ELi11EEEENST_IJLi12ELi13EEEENST_IJLi14EEEES15_S16_S18_S17_NST_IJLi19ELi20EEEENST_IJLi21EEEEEEENST_IJLi19ELi21ELi20EEEElEENSB_INS5_IJSR_SP_SP_SR_SG_EEENS5_IJSU_SV_SW_SY_SX_EEENS5_IJNST_IJLi1ELi2EEEESX_SY_NST_IJLi5ELi6EEEES11_EEENST_IJLi5ELi7ELi6EEEElEENSB_INS5_IJSK_SP_SP_EEENS5_IJSU_SV_SW_EEENS5_IJS1M_SX_SY_EEENST_IJLi3ELi4EEEElEELi128ELi128ELi16ELi1ELi4ELi4ELi1ENST_IJLi8ELi2EEEES1W_NST_IJLi8ELi1ELi1ELi1EEEENST_IJLi2ELi1ELi128ELi1EEEENST_IJLi1ELi2ELi0ELi3EEEES1Z_NST_IJLi4ELi1ELi1ELi1EEEES1Z_NST_IJLi1ELi1ELi1ELi1EEEES1X_S1Y_S1Z_S1Z_S20_S1Z_S21_NST_IJLi0ELi1ELi2ELi3ELi4ELi5EEEELi5ELi4EEEfNS5_IJPKfEEEfS8_S8_S9_NSB_INS5_IJSE_SG_SI_SI_SG_SG_SK_SK_SG_SN_SN_SP_SP_SR_SG_SG_NSQ_INS5_IJiNS_17integral_constantIiLi128EEEEEELb0EEENSF_INS27_IiLi1EEEEEEEENS5_IJSU_SV_SW_SX_SY_SZ_S10_S11_S12_S13_S14_S15_S16_S17_S18_NST_IJLi19EEEES1G_NST_IJLi20EEEEEEENS5_IJS1A_SZ_S10_S11_S12_S1B_S1C_S1D_S1E_S15_S16_S18_S17_S1F_S1G_NST_IJLi22EEEENST_IJLi23ELi24EEEENST_IJLi25EEEEEEENST_IJLi22ELi23ELi24ELi25EEEElEENSB_INS5_IJSR_SP_SP_SR_SG_SG_S2A_S2C_EEENS5_IJSU_SV_SW_SY_SX_SZ_S11_S10_EEENS5_IJS1M_SX_SY_S1N_S11_S12_NST_IJLi9ELi10EEEENST_IJLi11EEEEEEENST_IJLi8ELi9ELi10ELi11EEEElEENS5_IJNSB_INS5_IJSK_SP_SP_NSQ_INS5_IJiNS27_IiLi2EEENS27_IiLi64EEEEEELb0EEES2X_EEENS5_IJSU_SV_SW_SX_SY_EEENS5_IJS1M_SX_SY_NST_IJLi5ELi6ELi7EEEENST_IJLi8ELi9ELi10EEEEEEENST_IJLi5ELi6ELi7ELi8ELi9ELi10EEEElEEEEES34_NS_31BlockToCTileMap_M00_N00_M01_N01ILi128ELi128ES1V_Lb0EEENS1_30ComputePtrOffsetOfStridedBatchILi1ELi1ELi1EvEELb1ELb1EEEvPKT0_S3C_T1_PT2_T3_T4_T5_iT6_T7_T8_T9_T10_T11_
    .private_segment_fixed_size: 640
    .sgpr_count:     98
    .sgpr_spill_count: 0
    .symbol:         _ZN2ck16tensor_operation6device12_GLOBAL__N_137kernel_grouped_conv_fwd_dl_multiple_dINS_32GridwiseGemmDlMultipleD_km_kn_mnILi256EffNS_5TupleIJfEEEfNS0_12element_wise11PassThroughES8_NS7_7AddReluELNS_25InMemoryDataOperationEnumE0ENS_16TensorDescriptorINS5_IJNS_5EmbedINS5_IJiiiiEEESD_Lb0EEENS_11PassThroughIiEENS_3PadIiiiLb0EEESI_SG_SG_NSC_INS5_IJiiEEESJ_Lb0EEESK_SG_NS_23Merge_v2_magic_divisionINS5_IJiiiEEEEESN_NS_8RightPadIiiLb0EEESP_NS_7UnMergeISJ_Lb0EEESG_EEENS5_IJNS_8SequenceIJLi0EEEENST_IJLi1EEEENST_IJLi2EEEENST_IJLi3EEEENST_IJLi4EEEENST_IJLi5EEEENST_IJLi6EEEENST_IJLi7EEEENST_IJLi8EEEENST_IJLi9ELi11ELi13EEEENST_IJLi10ELi12ELi14EEEENST_IJLi15EEEENST_IJLi16EEEENST_IJLi18EEEENST_IJLi17EEEEEEENS5_IJNST_IJLi1ELi2ELi3ELi4EEEESZ_S10_S11_S12_NST_IJLi9EEEENST_IJLi10ELi11EEEENST_IJLi12ELi13EEEENST_IJLi14EEEES15_S16_S18_S17_NST_IJLi19ELi20EEEENST_IJLi21EEEEEEENST_IJLi19ELi21ELi20EEEElEENSB_INS5_IJSR_SP_SP_SR_SG_EEENS5_IJSU_SV_SW_SY_SX_EEENS5_IJNST_IJLi1ELi2EEEESX_SY_NST_IJLi5ELi6EEEES11_EEENST_IJLi5ELi7ELi6EEEElEENSB_INS5_IJSK_SP_SP_EEENS5_IJSU_SV_SW_EEENS5_IJS1M_SX_SY_EEENST_IJLi3ELi4EEEElEELi128ELi128ELi16ELi1ELi4ELi4ELi1ENST_IJLi8ELi2EEEES1W_NST_IJLi8ELi1ELi1ELi1EEEENST_IJLi2ELi1ELi128ELi1EEEENST_IJLi1ELi2ELi0ELi3EEEES1Z_NST_IJLi4ELi1ELi1ELi1EEEES1Z_NST_IJLi1ELi1ELi1ELi1EEEES1X_S1Y_S1Z_S1Z_S20_S1Z_S21_NST_IJLi0ELi1ELi2ELi3ELi4ELi5EEEELi5ELi4EEEfNS5_IJPKfEEEfS8_S8_S9_NSB_INS5_IJSE_SG_SI_SI_SG_SG_SK_SK_SG_SN_SN_SP_SP_SR_SG_SG_NSQ_INS5_IJiNS_17integral_constantIiLi128EEEEEELb0EEENSF_INS27_IiLi1EEEEEEEENS5_IJSU_SV_SW_SX_SY_SZ_S10_S11_S12_S13_S14_S15_S16_S17_S18_NST_IJLi19EEEES1G_NST_IJLi20EEEEEEENS5_IJS1A_SZ_S10_S11_S12_S1B_S1C_S1D_S1E_S15_S16_S18_S17_S1F_S1G_NST_IJLi22EEEENST_IJLi23ELi24EEEENST_IJLi25EEEEEEENST_IJLi22ELi23ELi24ELi25EEEElEENSB_INS5_IJSR_SP_SP_SR_SG_SG_S2A_S2C_EEENS5_IJSU_SV_SW_SY_SX_SZ_S11_S10_EEENS5_IJS1M_SX_SY_S1N_S11_S12_NST_IJLi9ELi10EEEENST_IJLi11EEEEEEENST_IJLi8ELi9ELi10ELi11EEEElEENS5_IJNSB_INS5_IJSK_SP_SP_NSQ_INS5_IJiNS27_IiLi2EEENS27_IiLi64EEEEEELb0EEES2X_EEENS5_IJSU_SV_SW_SX_SY_EEENS5_IJS1M_SX_SY_NST_IJLi5ELi6ELi7EEEENST_IJLi8ELi9ELi10EEEEEEENST_IJLi5ELi6ELi7ELi8ELi9ELi10EEEElEEEEES34_NS_31BlockToCTileMap_M00_N00_M01_N01ILi128ELi128ES1V_Lb0EEENS1_30ComputePtrOffsetOfStridedBatchILi1ELi1ELi1EvEELb1ELb1EEEvPKT0_S3C_T1_PT2_T3_T4_T5_iT6_T7_T8_T9_T10_T11_.kd
    .uniform_work_group_size: 1
    .uses_dynamic_stack: false
    .vgpr_count:     142
    .vgpr_spill_count: 0
    .wavefront_size: 64
  - .agpr_count:     14
    .args:
      - .address_space:  global
        .offset:         0
        .size:           8
        .value_kind:     global_buffer
      - .address_space:  global
        .offset:         8
        .size:           8
        .value_kind:     global_buffer
      - .address_space:  global
        .offset:         16
        .size:           8
        .value_kind:     global_buffer
      - .address_space:  global
        .offset:         24
        .size:           8
        .value_kind:     global_buffer
      - .offset:         32
        .size:           1
        .value_kind:     by_value
      - .offset:         33
        .size:           1
        .value_kind:     by_value
      - .offset:         34
        .size:           1
        .value_kind:     by_value
      - .offset:         36
        .size:           4
        .value_kind:     by_value
      - .offset:         40
        .size:           264
        .value_kind:     by_value
      - .offset:         304
        .size:           96
        .value_kind:     by_value
      - .offset:         400
        .size:           80
        .value_kind:     by_value
      - .offset:         480
        .size:           80
        .value_kind:     by_value
      - .offset:         560
        .size:           112
        .value_kind:     by_value
      - .offset:         672
        .size:           40
        .value_kind:     by_value
      - .offset:         712
        .size:           4
        .value_kind:     hidden_block_count_x
      - .offset:         716
        .size:           4
        .value_kind:     hidden_block_count_y
      - .offset:         720
        .size:           4
        .value_kind:     hidden_block_count_z
      - .offset:         724
        .size:           2
        .value_kind:     hidden_group_size_x
      - .offset:         726
        .size:           2
        .value_kind:     hidden_group_size_y
      - .offset:         728
        .size:           2
        .value_kind:     hidden_group_size_z
      - .offset:         730
        .size:           2
        .value_kind:     hidden_remainder_x
      - .offset:         732
        .size:           2
        .value_kind:     hidden_remainder_y
      - .offset:         734
        .size:           2
        .value_kind:     hidden_remainder_z
      - .offset:         752
        .size:           8
        .value_kind:     hidden_global_offset_x
      - .offset:         760
        .size:           8
        .value_kind:     hidden_global_offset_y
      - .offset:         768
        .size:           8
        .value_kind:     hidden_global_offset_z
      - .offset:         776
        .size:           2
        .value_kind:     hidden_grid_dims
    .group_segment_fixed_size: 32768
    .kernarg_segment_align: 8
    .kernarg_segment_size: 968
    .language:       OpenCL C
    .language_version:
      - 2
      - 0
    .max_flat_workgroup_size: 256
    .name:           _ZN2ck16tensor_operation6device12_GLOBAL__N_137kernel_grouped_conv_fwd_dl_multiple_dINS_32GridwiseGemmDlMultipleD_km_kn_mnILi256EffNS_5TupleIJfEEEfNS0_12element_wise11PassThroughES8_NS7_7AddReluELNS_25InMemoryDataOperationEnumE0ENS_16TensorDescriptorINS5_IJNS_5EmbedINS5_IJiiiiEEESD_Lb0EEENS_11PassThroughIiEENS_3PadIiiiLb0EEESI_SG_SG_NSC_INS5_IJiiEEESJ_Lb0EEESK_SG_NS_23Merge_v2_magic_divisionINS5_IJiiiEEEEESN_NS_8RightPadIiiLb0EEESP_NS_7UnMergeISJ_Lb0EEESG_EEENS5_IJNS_8SequenceIJLi0EEEENST_IJLi1EEEENST_IJLi2EEEENST_IJLi3EEEENST_IJLi4EEEENST_IJLi5EEEENST_IJLi6EEEENST_IJLi7EEEENST_IJLi8EEEENST_IJLi9ELi11ELi13EEEENST_IJLi10ELi12ELi14EEEENST_IJLi15EEEENST_IJLi16EEEENST_IJLi18EEEENST_IJLi17EEEEEEENS5_IJNST_IJLi1ELi2ELi3ELi4EEEESZ_S10_S11_S12_NST_IJLi9EEEENST_IJLi10ELi11EEEENST_IJLi12ELi13EEEENST_IJLi14EEEES15_S16_S18_S17_NST_IJLi19ELi20EEEENST_IJLi21EEEEEEENST_IJLi19ELi21ELi20EEEElEENSB_INS5_IJSR_SP_SP_SR_SG_EEENS5_IJSU_SV_SW_SY_SX_EEENS5_IJNST_IJLi1ELi2EEEESX_SY_NST_IJLi5ELi6EEEES11_EEENST_IJLi5ELi7ELi6EEEElEENSB_INS5_IJSK_SP_SP_EEENS5_IJSU_SV_SW_EEENS5_IJS1M_SX_SY_EEENST_IJLi3ELi4EEEElEELi128ELi128ELi16ELi1ELi4ELi4ELi1ENST_IJLi8ELi2EEEES1W_NST_IJLi8ELi1ELi1ELi1EEEENST_IJLi2ELi1ELi128ELi1EEEENST_IJLi1ELi2ELi0ELi3EEEES1Z_NST_IJLi4ELi1ELi1ELi1EEEES1Z_NST_IJLi1ELi1ELi1ELi1EEEES1X_S1Y_S1Z_S1Z_S20_S1Z_S21_NST_IJLi0ELi1ELi2ELi3ELi4ELi5EEEELi5ELi4EEEfNS5_IJPKfEEEfS8_S8_S9_NSB_INS5_IJSE_SG_SI_SI_SG_SG_SK_SK_SG_SN_SN_SP_SP_SR_SG_SG_NSQ_INS5_IJiNS_17integral_constantIiLi128EEEEEELb0EEENSF_INS27_IiLi1EEEEEEEENS5_IJSU_SV_SW_SX_SY_SZ_S10_S11_S12_S13_S14_S15_S16_S17_S18_NST_IJLi19EEEES1G_NST_IJLi20EEEEEEENS5_IJS1A_SZ_S10_S11_S12_S1B_S1C_S1D_S1E_S15_S16_S18_S17_S1F_S1G_NST_IJLi22EEEENST_IJLi23ELi24EEEENST_IJLi25EEEEEEENST_IJLi22ELi23ELi24ELi25EEEElEENSB_INS5_IJSR_SP_SP_SR_SG_SG_S2A_S2C_EEENS5_IJSU_SV_SW_SY_SX_SZ_S11_S10_EEENS5_IJS1M_SX_SY_S1N_S11_S12_NST_IJLi9ELi10EEEENST_IJLi11EEEEEEENST_IJLi8ELi9ELi10ELi11EEEElEENS5_IJNSB_INS5_IJSK_SP_SP_NSQ_INS5_IJiNS27_IiLi2EEENS27_IiLi64EEEEEELb0EEES2X_EEENS5_IJSU_SV_SW_SX_SY_EEENS5_IJS1M_SX_SY_NST_IJLi5ELi6ELi7EEEENST_IJLi8ELi9ELi10EEEEEEENST_IJLi5ELi6ELi7ELi8ELi9ELi10EEEElEEEEES34_NS_31BlockToCTileMap_M00_N00_M01_N01ILi128ELi128ES1V_Lb0EEENS1_30ComputePtrOffsetOfStridedBatchILi1ELi1ELi1EvEELb1ELb0EEEvPKT0_S3C_T1_PT2_T3_T4_T5_iT6_T7_T8_T9_T10_T11_
    .private_segment_fixed_size: 640
    .sgpr_count:     98
    .sgpr_spill_count: 0
    .symbol:         _ZN2ck16tensor_operation6device12_GLOBAL__N_137kernel_grouped_conv_fwd_dl_multiple_dINS_32GridwiseGemmDlMultipleD_km_kn_mnILi256EffNS_5TupleIJfEEEfNS0_12element_wise11PassThroughES8_NS7_7AddReluELNS_25InMemoryDataOperationEnumE0ENS_16TensorDescriptorINS5_IJNS_5EmbedINS5_IJiiiiEEESD_Lb0EEENS_11PassThroughIiEENS_3PadIiiiLb0EEESI_SG_SG_NSC_INS5_IJiiEEESJ_Lb0EEESK_SG_NS_23Merge_v2_magic_divisionINS5_IJiiiEEEEESN_NS_8RightPadIiiLb0EEESP_NS_7UnMergeISJ_Lb0EEESG_EEENS5_IJNS_8SequenceIJLi0EEEENST_IJLi1EEEENST_IJLi2EEEENST_IJLi3EEEENST_IJLi4EEEENST_IJLi5EEEENST_IJLi6EEEENST_IJLi7EEEENST_IJLi8EEEENST_IJLi9ELi11ELi13EEEENST_IJLi10ELi12ELi14EEEENST_IJLi15EEEENST_IJLi16EEEENST_IJLi18EEEENST_IJLi17EEEEEEENS5_IJNST_IJLi1ELi2ELi3ELi4EEEESZ_S10_S11_S12_NST_IJLi9EEEENST_IJLi10ELi11EEEENST_IJLi12ELi13EEEENST_IJLi14EEEES15_S16_S18_S17_NST_IJLi19ELi20EEEENST_IJLi21EEEEEEENST_IJLi19ELi21ELi20EEEElEENSB_INS5_IJSR_SP_SP_SR_SG_EEENS5_IJSU_SV_SW_SY_SX_EEENS5_IJNST_IJLi1ELi2EEEESX_SY_NST_IJLi5ELi6EEEES11_EEENST_IJLi5ELi7ELi6EEEElEENSB_INS5_IJSK_SP_SP_EEENS5_IJSU_SV_SW_EEENS5_IJS1M_SX_SY_EEENST_IJLi3ELi4EEEElEELi128ELi128ELi16ELi1ELi4ELi4ELi1ENST_IJLi8ELi2EEEES1W_NST_IJLi8ELi1ELi1ELi1EEEENST_IJLi2ELi1ELi128ELi1EEEENST_IJLi1ELi2ELi0ELi3EEEES1Z_NST_IJLi4ELi1ELi1ELi1EEEES1Z_NST_IJLi1ELi1ELi1ELi1EEEES1X_S1Y_S1Z_S1Z_S20_S1Z_S21_NST_IJLi0ELi1ELi2ELi3ELi4ELi5EEEELi5ELi4EEEfNS5_IJPKfEEEfS8_S8_S9_NSB_INS5_IJSE_SG_SI_SI_SG_SG_SK_SK_SG_SN_SN_SP_SP_SR_SG_SG_NSQ_INS5_IJiNS_17integral_constantIiLi128EEEEEELb0EEENSF_INS27_IiLi1EEEEEEEENS5_IJSU_SV_SW_SX_SY_SZ_S10_S11_S12_S13_S14_S15_S16_S17_S18_NST_IJLi19EEEES1G_NST_IJLi20EEEEEEENS5_IJS1A_SZ_S10_S11_S12_S1B_S1C_S1D_S1E_S15_S16_S18_S17_S1F_S1G_NST_IJLi22EEEENST_IJLi23ELi24EEEENST_IJLi25EEEEEEENST_IJLi22ELi23ELi24ELi25EEEElEENSB_INS5_IJSR_SP_SP_SR_SG_SG_S2A_S2C_EEENS5_IJSU_SV_SW_SY_SX_SZ_S11_S10_EEENS5_IJS1M_SX_SY_S1N_S11_S12_NST_IJLi9ELi10EEEENST_IJLi11EEEEEEENST_IJLi8ELi9ELi10ELi11EEEElEENS5_IJNSB_INS5_IJSK_SP_SP_NSQ_INS5_IJiNS27_IiLi2EEENS27_IiLi64EEEEEELb0EEES2X_EEENS5_IJSU_SV_SW_SX_SY_EEENS5_IJS1M_SX_SY_NST_IJLi5ELi6ELi7EEEENST_IJLi8ELi9ELi10EEEEEEENST_IJLi5ELi6ELi7ELi8ELi9ELi10EEEElEEEEES34_NS_31BlockToCTileMap_M00_N00_M01_N01ILi128ELi128ES1V_Lb0EEENS1_30ComputePtrOffsetOfStridedBatchILi1ELi1ELi1EvEELb1ELb0EEEvPKT0_S3C_T1_PT2_T3_T4_T5_iT6_T7_T8_T9_T10_T11_.kd
    .uniform_work_group_size: 1
    .uses_dynamic_stack: false
    .vgpr_count:     142
    .vgpr_spill_count: 0
    .wavefront_size: 64
  - .agpr_count:     0
    .args:
      - .address_space:  global
        .offset:         0
        .size:           8
        .value_kind:     global_buffer
      - .address_space:  global
        .offset:         8
        .size:           8
        .value_kind:     global_buffer
      - .address_space:  global
        .offset:         16
        .size:           8
        .value_kind:     global_buffer
      - .address_space:  global
        .offset:         24
        .size:           8
        .value_kind:     global_buffer
      - .offset:         32
        .size:           1
        .value_kind:     by_value
      - .offset:         33
        .size:           1
        .value_kind:     by_value
      - .offset:         34
        .size:           1
        .value_kind:     by_value
      - .offset:         36
        .size:           4
        .value_kind:     by_value
      - .offset:         40
        .size:           264
        .value_kind:     by_value
      - .offset:         304
        .size:           96
        .value_kind:     by_value
      - .offset:         400
        .size:           80
        .value_kind:     by_value
      - .offset:         480
        .size:           80
        .value_kind:     by_value
      - .offset:         560
        .size:           112
        .value_kind:     by_value
      - .offset:         672
        .size:           40
        .value_kind:     by_value
      - .offset:         712
        .size:           4
        .value_kind:     hidden_block_count_x
      - .offset:         716
        .size:           4
        .value_kind:     hidden_block_count_y
      - .offset:         720
        .size:           4
        .value_kind:     hidden_block_count_z
      - .offset:         724
        .size:           2
        .value_kind:     hidden_group_size_x
      - .offset:         726
        .size:           2
        .value_kind:     hidden_group_size_y
      - .offset:         728
        .size:           2
        .value_kind:     hidden_group_size_z
      - .offset:         730
        .size:           2
        .value_kind:     hidden_remainder_x
      - .offset:         732
        .size:           2
        .value_kind:     hidden_remainder_y
      - .offset:         734
        .size:           2
        .value_kind:     hidden_remainder_z
      - .offset:         752
        .size:           8
        .value_kind:     hidden_global_offset_x
      - .offset:         760
        .size:           8
        .value_kind:     hidden_global_offset_y
      - .offset:         768
        .size:           8
        .value_kind:     hidden_global_offset_z
      - .offset:         776
        .size:           2
        .value_kind:     hidden_grid_dims
    .group_segment_fixed_size: 32768
    .kernarg_segment_align: 8
    .kernarg_segment_size: 968
    .language:       OpenCL C
    .language_version:
      - 2
      - 0
    .max_flat_workgroup_size: 256
    .name:           _ZN2ck16tensor_operation6device12_GLOBAL__N_137kernel_grouped_conv_fwd_dl_multiple_dINS_32GridwiseGemmDlMultipleD_km_kn_mnILi256EffNS_5TupleIJfEEEfNS0_12element_wise11PassThroughES8_NS7_7AddReluELNS_25InMemoryDataOperationEnumE0ENS_16TensorDescriptorINS5_IJNS_5EmbedINS5_IJiiiiEEESD_Lb0EEENS_11PassThroughIiEENS_3PadIiiiLb0EEESI_SG_SG_NSC_INS5_IJiiEEESJ_Lb0EEESK_SG_NS_23Merge_v2_magic_divisionINS5_IJiiiEEEEESN_NS_8RightPadIiiLb0EEESP_NS_7UnMergeISJ_Lb0EEESG_EEENS5_IJNS_8SequenceIJLi0EEEENST_IJLi1EEEENST_IJLi2EEEENST_IJLi3EEEENST_IJLi4EEEENST_IJLi5EEEENST_IJLi6EEEENST_IJLi7EEEENST_IJLi8EEEENST_IJLi9ELi11ELi13EEEENST_IJLi10ELi12ELi14EEEENST_IJLi15EEEENST_IJLi16EEEENST_IJLi18EEEENST_IJLi17EEEEEEENS5_IJNST_IJLi1ELi2ELi3ELi4EEEESZ_S10_S11_S12_NST_IJLi9EEEENST_IJLi10ELi11EEEENST_IJLi12ELi13EEEENST_IJLi14EEEES15_S16_S18_S17_NST_IJLi19ELi20EEEENST_IJLi21EEEEEEENST_IJLi19ELi21ELi20EEEElEENSB_INS5_IJSR_SP_SP_SR_SG_EEENS5_IJSU_SV_SW_SY_SX_EEENS5_IJNST_IJLi1ELi2EEEESX_SY_NST_IJLi5ELi6EEEES11_EEENST_IJLi5ELi7ELi6EEEElEENSB_INS5_IJSK_SP_SP_EEENS5_IJSU_SV_SW_EEENS5_IJS1M_SX_SY_EEENST_IJLi3ELi4EEEElEELi128ELi128ELi16ELi1ELi4ELi4ELi1ENST_IJLi8ELi2EEEES1W_NST_IJLi8ELi1ELi1ELi1EEEENST_IJLi2ELi1ELi128ELi1EEEENST_IJLi1ELi2ELi0ELi3EEEES1Z_NST_IJLi4ELi1ELi1ELi1EEEES1Z_NST_IJLi1ELi1ELi1ELi1EEEES1X_S1Y_S1Z_S1Z_S20_S1Z_S21_NST_IJLi0ELi1ELi2ELi3ELi4ELi5EEEELi5ELi4EEEfNS5_IJPKfEEEfS8_S8_S9_NSB_INS5_IJSE_SG_SI_SI_SG_SG_SK_SK_SG_SN_SN_SP_SP_SR_SG_SG_NSQ_INS5_IJiNS_17integral_constantIiLi128EEEEEELb0EEENSF_INS27_IiLi1EEEEEEEENS5_IJSU_SV_SW_SX_SY_SZ_S10_S11_S12_S13_S14_S15_S16_S17_S18_NST_IJLi19EEEES1G_NST_IJLi20EEEEEEENS5_IJS1A_SZ_S10_S11_S12_S1B_S1C_S1D_S1E_S15_S16_S18_S17_S1F_S1G_NST_IJLi22EEEENST_IJLi23ELi24EEEENST_IJLi25EEEEEEENST_IJLi22ELi23ELi24ELi25EEEElEENSB_INS5_IJSR_SP_SP_SR_SG_SG_S2A_S2C_EEENS5_IJSU_SV_SW_SY_SX_SZ_S11_S10_EEENS5_IJS1M_SX_SY_S1N_S11_S12_NST_IJLi9ELi10EEEENST_IJLi11EEEEEEENST_IJLi8ELi9ELi10ELi11EEEElEENS5_IJNSB_INS5_IJSK_SP_SP_NSQ_INS5_IJiNS27_IiLi2EEENS27_IiLi64EEEEEELb0EEES2X_EEENS5_IJSU_SV_SW_SX_SY_EEENS5_IJS1M_SX_SY_NST_IJLi5ELi6ELi7EEEENST_IJLi8ELi9ELi10EEEEEEENST_IJLi5ELi6ELi7ELi8ELi9ELi10EEEElEEEEES34_NS_31BlockToCTileMap_M00_N00_M01_N01ILi128ELi128ES1V_Lb0EEENS1_30ComputePtrOffsetOfStridedBatchILi1ELi1ELi1EvEELb0ELb1EEEvPKT0_S3C_T1_PT2_T3_T4_T5_iT6_T7_T8_T9_T10_T11_
    .private_segment_fixed_size: 0
    .sgpr_count:     82
    .sgpr_spill_count: 0
    .symbol:         _ZN2ck16tensor_operation6device12_GLOBAL__N_137kernel_grouped_conv_fwd_dl_multiple_dINS_32GridwiseGemmDlMultipleD_km_kn_mnILi256EffNS_5TupleIJfEEEfNS0_12element_wise11PassThroughES8_NS7_7AddReluELNS_25InMemoryDataOperationEnumE0ENS_16TensorDescriptorINS5_IJNS_5EmbedINS5_IJiiiiEEESD_Lb0EEENS_11PassThroughIiEENS_3PadIiiiLb0EEESI_SG_SG_NSC_INS5_IJiiEEESJ_Lb0EEESK_SG_NS_23Merge_v2_magic_divisionINS5_IJiiiEEEEESN_NS_8RightPadIiiLb0EEESP_NS_7UnMergeISJ_Lb0EEESG_EEENS5_IJNS_8SequenceIJLi0EEEENST_IJLi1EEEENST_IJLi2EEEENST_IJLi3EEEENST_IJLi4EEEENST_IJLi5EEEENST_IJLi6EEEENST_IJLi7EEEENST_IJLi8EEEENST_IJLi9ELi11ELi13EEEENST_IJLi10ELi12ELi14EEEENST_IJLi15EEEENST_IJLi16EEEENST_IJLi18EEEENST_IJLi17EEEEEEENS5_IJNST_IJLi1ELi2ELi3ELi4EEEESZ_S10_S11_S12_NST_IJLi9EEEENST_IJLi10ELi11EEEENST_IJLi12ELi13EEEENST_IJLi14EEEES15_S16_S18_S17_NST_IJLi19ELi20EEEENST_IJLi21EEEEEEENST_IJLi19ELi21ELi20EEEElEENSB_INS5_IJSR_SP_SP_SR_SG_EEENS5_IJSU_SV_SW_SY_SX_EEENS5_IJNST_IJLi1ELi2EEEESX_SY_NST_IJLi5ELi6EEEES11_EEENST_IJLi5ELi7ELi6EEEElEENSB_INS5_IJSK_SP_SP_EEENS5_IJSU_SV_SW_EEENS5_IJS1M_SX_SY_EEENST_IJLi3ELi4EEEElEELi128ELi128ELi16ELi1ELi4ELi4ELi1ENST_IJLi8ELi2EEEES1W_NST_IJLi8ELi1ELi1ELi1EEEENST_IJLi2ELi1ELi128ELi1EEEENST_IJLi1ELi2ELi0ELi3EEEES1Z_NST_IJLi4ELi1ELi1ELi1EEEES1Z_NST_IJLi1ELi1ELi1ELi1EEEES1X_S1Y_S1Z_S1Z_S20_S1Z_S21_NST_IJLi0ELi1ELi2ELi3ELi4ELi5EEEELi5ELi4EEEfNS5_IJPKfEEEfS8_S8_S9_NSB_INS5_IJSE_SG_SI_SI_SG_SG_SK_SK_SG_SN_SN_SP_SP_SR_SG_SG_NSQ_INS5_IJiNS_17integral_constantIiLi128EEEEEELb0EEENSF_INS27_IiLi1EEEEEEEENS5_IJSU_SV_SW_SX_SY_SZ_S10_S11_S12_S13_S14_S15_S16_S17_S18_NST_IJLi19EEEES1G_NST_IJLi20EEEEEEENS5_IJS1A_SZ_S10_S11_S12_S1B_S1C_S1D_S1E_S15_S16_S18_S17_S1F_S1G_NST_IJLi22EEEENST_IJLi23ELi24EEEENST_IJLi25EEEEEEENST_IJLi22ELi23ELi24ELi25EEEElEENSB_INS5_IJSR_SP_SP_SR_SG_SG_S2A_S2C_EEENS5_IJSU_SV_SW_SY_SX_SZ_S11_S10_EEENS5_IJS1M_SX_SY_S1N_S11_S12_NST_IJLi9ELi10EEEENST_IJLi11EEEEEEENST_IJLi8ELi9ELi10ELi11EEEElEENS5_IJNSB_INS5_IJSK_SP_SP_NSQ_INS5_IJiNS27_IiLi2EEENS27_IiLi64EEEEEELb0EEES2X_EEENS5_IJSU_SV_SW_SX_SY_EEENS5_IJS1M_SX_SY_NST_IJLi5ELi6ELi7EEEENST_IJLi8ELi9ELi10EEEEEEENST_IJLi5ELi6ELi7ELi8ELi9ELi10EEEElEEEEES34_NS_31BlockToCTileMap_M00_N00_M01_N01ILi128ELi128ES1V_Lb0EEENS1_30ComputePtrOffsetOfStridedBatchILi1ELi1ELi1EvEELb0ELb1EEEvPKT0_S3C_T1_PT2_T3_T4_T5_iT6_T7_T8_T9_T10_T11_.kd
    .uniform_work_group_size: 1
    .uses_dynamic_stack: false
    .vgpr_count:     105
    .vgpr_spill_count: 0
    .wavefront_size: 64
  - .agpr_count:     0
    .args:
      - .address_space:  global
        .offset:         0
        .size:           8
        .value_kind:     global_buffer
      - .address_space:  global
        .offset:         8
        .size:           8
        .value_kind:     global_buffer
      - .address_space:  global
        .offset:         16
        .size:           8
        .value_kind:     global_buffer
      - .address_space:  global
        .offset:         24
        .size:           8
        .value_kind:     global_buffer
      - .offset:         32
        .size:           1
        .value_kind:     by_value
      - .offset:         33
        .size:           1
        .value_kind:     by_value
      - .offset:         34
        .size:           1
        .value_kind:     by_value
      - .offset:         36
        .size:           4
        .value_kind:     by_value
      - .offset:         40
        .size:           264
        .value_kind:     by_value
      - .offset:         304
        .size:           96
        .value_kind:     by_value
      - .offset:         400
        .size:           80
        .value_kind:     by_value
      - .offset:         480
        .size:           80
        .value_kind:     by_value
      - .offset:         560
        .size:           112
        .value_kind:     by_value
      - .offset:         672
        .size:           40
        .value_kind:     by_value
      - .offset:         712
        .size:           4
        .value_kind:     hidden_block_count_x
      - .offset:         716
        .size:           4
        .value_kind:     hidden_block_count_y
      - .offset:         720
        .size:           4
        .value_kind:     hidden_block_count_z
      - .offset:         724
        .size:           2
        .value_kind:     hidden_group_size_x
      - .offset:         726
        .size:           2
        .value_kind:     hidden_group_size_y
      - .offset:         728
        .size:           2
        .value_kind:     hidden_group_size_z
      - .offset:         730
        .size:           2
        .value_kind:     hidden_remainder_x
      - .offset:         732
        .size:           2
        .value_kind:     hidden_remainder_y
      - .offset:         734
        .size:           2
        .value_kind:     hidden_remainder_z
      - .offset:         752
        .size:           8
        .value_kind:     hidden_global_offset_x
      - .offset:         760
        .size:           8
        .value_kind:     hidden_global_offset_y
      - .offset:         768
        .size:           8
        .value_kind:     hidden_global_offset_z
      - .offset:         776
        .size:           2
        .value_kind:     hidden_grid_dims
    .group_segment_fixed_size: 32768
    .kernarg_segment_align: 8
    .kernarg_segment_size: 968
    .language:       OpenCL C
    .language_version:
      - 2
      - 0
    .max_flat_workgroup_size: 256
    .name:           _ZN2ck16tensor_operation6device12_GLOBAL__N_137kernel_grouped_conv_fwd_dl_multiple_dINS_32GridwiseGemmDlMultipleD_km_kn_mnILi256EffNS_5TupleIJfEEEfNS0_12element_wise11PassThroughES8_NS7_7AddReluELNS_25InMemoryDataOperationEnumE0ENS_16TensorDescriptorINS5_IJNS_5EmbedINS5_IJiiiiEEESD_Lb0EEENS_11PassThroughIiEENS_3PadIiiiLb0EEESI_SG_SG_NSC_INS5_IJiiEEESJ_Lb0EEESK_SG_NS_23Merge_v2_magic_divisionINS5_IJiiiEEEEESN_NS_8RightPadIiiLb0EEESP_NS_7UnMergeISJ_Lb0EEESG_EEENS5_IJNS_8SequenceIJLi0EEEENST_IJLi1EEEENST_IJLi2EEEENST_IJLi3EEEENST_IJLi4EEEENST_IJLi5EEEENST_IJLi6EEEENST_IJLi7EEEENST_IJLi8EEEENST_IJLi9ELi11ELi13EEEENST_IJLi10ELi12ELi14EEEENST_IJLi15EEEENST_IJLi16EEEENST_IJLi18EEEENST_IJLi17EEEEEEENS5_IJNST_IJLi1ELi2ELi3ELi4EEEESZ_S10_S11_S12_NST_IJLi9EEEENST_IJLi10ELi11EEEENST_IJLi12ELi13EEEENST_IJLi14EEEES15_S16_S18_S17_NST_IJLi19ELi20EEEENST_IJLi21EEEEEEENST_IJLi19ELi21ELi20EEEElEENSB_INS5_IJSR_SP_SP_SR_SG_EEENS5_IJSU_SV_SW_SY_SX_EEENS5_IJNST_IJLi1ELi2EEEESX_SY_NST_IJLi5ELi6EEEES11_EEENST_IJLi5ELi7ELi6EEEElEENSB_INS5_IJSK_SP_SP_EEENS5_IJSU_SV_SW_EEENS5_IJS1M_SX_SY_EEENST_IJLi3ELi4EEEElEELi128ELi128ELi16ELi1ELi4ELi4ELi1ENST_IJLi8ELi2EEEES1W_NST_IJLi8ELi1ELi1ELi1EEEENST_IJLi2ELi1ELi128ELi1EEEENST_IJLi1ELi2ELi0ELi3EEEES1Z_NST_IJLi4ELi1ELi1ELi1EEEES1Z_NST_IJLi1ELi1ELi1ELi1EEEES1X_S1Y_S1Z_S1Z_S20_S1Z_S21_NST_IJLi0ELi1ELi2ELi3ELi4ELi5EEEELi5ELi4EEEfNS5_IJPKfEEEfS8_S8_S9_NSB_INS5_IJSE_SG_SI_SI_SG_SG_SK_SK_SG_SN_SN_SP_SP_SR_SG_SG_NSQ_INS5_IJiNS_17integral_constantIiLi128EEEEEELb0EEENSF_INS27_IiLi1EEEEEEEENS5_IJSU_SV_SW_SX_SY_SZ_S10_S11_S12_S13_S14_S15_S16_S17_S18_NST_IJLi19EEEES1G_NST_IJLi20EEEEEEENS5_IJS1A_SZ_S10_S11_S12_S1B_S1C_S1D_S1E_S15_S16_S18_S17_S1F_S1G_NST_IJLi22EEEENST_IJLi23ELi24EEEENST_IJLi25EEEEEEENST_IJLi22ELi23ELi24ELi25EEEElEENSB_INS5_IJSR_SP_SP_SR_SG_SG_S2A_S2C_EEENS5_IJSU_SV_SW_SY_SX_SZ_S11_S10_EEENS5_IJS1M_SX_SY_S1N_S11_S12_NST_IJLi9ELi10EEEENST_IJLi11EEEEEEENST_IJLi8ELi9ELi10ELi11EEEElEENS5_IJNSB_INS5_IJSK_SP_SP_NSQ_INS5_IJiNS27_IiLi2EEENS27_IiLi64EEEEEELb0EEES2X_EEENS5_IJSU_SV_SW_SX_SY_EEENS5_IJS1M_SX_SY_NST_IJLi5ELi6ELi7EEEENST_IJLi8ELi9ELi10EEEEEEENST_IJLi5ELi6ELi7ELi8ELi9ELi10EEEElEEEEES34_NS_31BlockToCTileMap_M00_N00_M01_N01ILi128ELi128ES1V_Lb0EEENS1_30ComputePtrOffsetOfStridedBatchILi1ELi1ELi1EvEELb0ELb0EEEvPKT0_S3C_T1_PT2_T3_T4_T5_iT6_T7_T8_T9_T10_T11_
    .private_segment_fixed_size: 0
    .sgpr_count:     82
    .sgpr_spill_count: 0
    .symbol:         _ZN2ck16tensor_operation6device12_GLOBAL__N_137kernel_grouped_conv_fwd_dl_multiple_dINS_32GridwiseGemmDlMultipleD_km_kn_mnILi256EffNS_5TupleIJfEEEfNS0_12element_wise11PassThroughES8_NS7_7AddReluELNS_25InMemoryDataOperationEnumE0ENS_16TensorDescriptorINS5_IJNS_5EmbedINS5_IJiiiiEEESD_Lb0EEENS_11PassThroughIiEENS_3PadIiiiLb0EEESI_SG_SG_NSC_INS5_IJiiEEESJ_Lb0EEESK_SG_NS_23Merge_v2_magic_divisionINS5_IJiiiEEEEESN_NS_8RightPadIiiLb0EEESP_NS_7UnMergeISJ_Lb0EEESG_EEENS5_IJNS_8SequenceIJLi0EEEENST_IJLi1EEEENST_IJLi2EEEENST_IJLi3EEEENST_IJLi4EEEENST_IJLi5EEEENST_IJLi6EEEENST_IJLi7EEEENST_IJLi8EEEENST_IJLi9ELi11ELi13EEEENST_IJLi10ELi12ELi14EEEENST_IJLi15EEEENST_IJLi16EEEENST_IJLi18EEEENST_IJLi17EEEEEEENS5_IJNST_IJLi1ELi2ELi3ELi4EEEESZ_S10_S11_S12_NST_IJLi9EEEENST_IJLi10ELi11EEEENST_IJLi12ELi13EEEENST_IJLi14EEEES15_S16_S18_S17_NST_IJLi19ELi20EEEENST_IJLi21EEEEEEENST_IJLi19ELi21ELi20EEEElEENSB_INS5_IJSR_SP_SP_SR_SG_EEENS5_IJSU_SV_SW_SY_SX_EEENS5_IJNST_IJLi1ELi2EEEESX_SY_NST_IJLi5ELi6EEEES11_EEENST_IJLi5ELi7ELi6EEEElEENSB_INS5_IJSK_SP_SP_EEENS5_IJSU_SV_SW_EEENS5_IJS1M_SX_SY_EEENST_IJLi3ELi4EEEElEELi128ELi128ELi16ELi1ELi4ELi4ELi1ENST_IJLi8ELi2EEEES1W_NST_IJLi8ELi1ELi1ELi1EEEENST_IJLi2ELi1ELi128ELi1EEEENST_IJLi1ELi2ELi0ELi3EEEES1Z_NST_IJLi4ELi1ELi1ELi1EEEES1Z_NST_IJLi1ELi1ELi1ELi1EEEES1X_S1Y_S1Z_S1Z_S20_S1Z_S21_NST_IJLi0ELi1ELi2ELi3ELi4ELi5EEEELi5ELi4EEEfNS5_IJPKfEEEfS8_S8_S9_NSB_INS5_IJSE_SG_SI_SI_SG_SG_SK_SK_SG_SN_SN_SP_SP_SR_SG_SG_NSQ_INS5_IJiNS_17integral_constantIiLi128EEEEEELb0EEENSF_INS27_IiLi1EEEEEEEENS5_IJSU_SV_SW_SX_SY_SZ_S10_S11_S12_S13_S14_S15_S16_S17_S18_NST_IJLi19EEEES1G_NST_IJLi20EEEEEEENS5_IJS1A_SZ_S10_S11_S12_S1B_S1C_S1D_S1E_S15_S16_S18_S17_S1F_S1G_NST_IJLi22EEEENST_IJLi23ELi24EEEENST_IJLi25EEEEEEENST_IJLi22ELi23ELi24ELi25EEEElEENSB_INS5_IJSR_SP_SP_SR_SG_SG_S2A_S2C_EEENS5_IJSU_SV_SW_SY_SX_SZ_S11_S10_EEENS5_IJS1M_SX_SY_S1N_S11_S12_NST_IJLi9ELi10EEEENST_IJLi11EEEEEEENST_IJLi8ELi9ELi10ELi11EEEElEENS5_IJNSB_INS5_IJSK_SP_SP_NSQ_INS5_IJiNS27_IiLi2EEENS27_IiLi64EEEEEELb0EEES2X_EEENS5_IJSU_SV_SW_SX_SY_EEENS5_IJS1M_SX_SY_NST_IJLi5ELi6ELi7EEEENST_IJLi8ELi9ELi10EEEEEEENST_IJLi5ELi6ELi7ELi8ELi9ELi10EEEElEEEEES34_NS_31BlockToCTileMap_M00_N00_M01_N01ILi128ELi128ES1V_Lb0EEENS1_30ComputePtrOffsetOfStridedBatchILi1ELi1ELi1EvEELb0ELb0EEEvPKT0_S3C_T1_PT2_T3_T4_T5_iT6_T7_T8_T9_T10_T11_.kd
    .uniform_work_group_size: 1
    .uses_dynamic_stack: false
    .vgpr_count:     105
    .vgpr_spill_count: 0
    .wavefront_size: 64
  - .agpr_count:     17
    .args:
      - .address_space:  global
        .offset:         0
        .size:           8
        .value_kind:     global_buffer
      - .address_space:  global
        .offset:         8
        .size:           8
        .value_kind:     global_buffer
      - .address_space:  global
        .offset:         16
        .size:           8
        .value_kind:     global_buffer
      - .address_space:  global
        .offset:         24
        .size:           8
        .value_kind:     global_buffer
      - .offset:         32
        .size:           1
        .value_kind:     by_value
      - .offset:         33
        .size:           1
        .value_kind:     by_value
      - .offset:         34
        .size:           1
        .value_kind:     by_value
      - .offset:         36
        .size:           4
        .value_kind:     by_value
      - .offset:         40
        .size:           320
        .value_kind:     by_value
      - .offset:         360
        .size:           96
        .value_kind:     by_value
      - .offset:         456
        .size:           80
        .value_kind:     by_value
      - .offset:         536
        .size:           80
        .value_kind:     by_value
      - .offset:         616
        .size:           112
        .value_kind:     by_value
      - .offset:         728
        .size:           40
        .value_kind:     by_value
      - .offset:         768
        .size:           4
        .value_kind:     hidden_block_count_x
      - .offset:         772
        .size:           4
        .value_kind:     hidden_block_count_y
      - .offset:         776
        .size:           4
        .value_kind:     hidden_block_count_z
      - .offset:         780
        .size:           2
        .value_kind:     hidden_group_size_x
      - .offset:         782
        .size:           2
        .value_kind:     hidden_group_size_y
      - .offset:         784
        .size:           2
        .value_kind:     hidden_group_size_z
      - .offset:         786
        .size:           2
        .value_kind:     hidden_remainder_x
      - .offset:         788
        .size:           2
        .value_kind:     hidden_remainder_y
      - .offset:         790
        .size:           2
        .value_kind:     hidden_remainder_z
      - .offset:         808
        .size:           8
        .value_kind:     hidden_global_offset_x
      - .offset:         816
        .size:           8
        .value_kind:     hidden_global_offset_y
      - .offset:         824
        .size:           8
        .value_kind:     hidden_global_offset_z
      - .offset:         832
        .size:           2
        .value_kind:     hidden_grid_dims
    .group_segment_fixed_size: 32768
    .kernarg_segment_align: 8
    .kernarg_segment_size: 1024
    .language:       OpenCL C
    .language_version:
      - 2
      - 0
    .max_flat_workgroup_size: 256
    .name:           _ZN2ck16tensor_operation6device12_GLOBAL__N_137kernel_grouped_conv_fwd_dl_multiple_dINS_32GridwiseGemmDlMultipleD_km_kn_mnILi256EffNS_5TupleIJfEEEfNS0_12element_wise11PassThroughES8_NS7_7AddReluELNS_25InMemoryDataOperationEnumE0ENS_16TensorDescriptorINS5_IJNS_5EmbedINS5_IJiiiiiEEESD_Lb0EEENS_11PassThroughIiEENS_3PadIiiiLb0EEESI_SI_SG_SG_NSC_INS5_IJiiEEESJ_Lb0EEESK_SK_SG_NS_23Merge_v2_magic_divisionINS5_IJiiiiEEEEESN_NS_8RightPadIiiLb0EEESP_NS_7UnMergeISJ_Lb0EEESG_EEENS5_IJNS_8SequenceIJLi0EEEENST_IJLi1EEEENST_IJLi2EEEENST_IJLi3EEEENST_IJLi4EEEENST_IJLi5EEEENST_IJLi6EEEENST_IJLi7EEEENST_IJLi8EEEENST_IJLi9EEEENST_IJLi10EEEENST_IJLi11ELi13ELi15ELi17EEEENST_IJLi12ELi14ELi16ELi18EEEENST_IJLi19EEEENST_IJLi20EEEENST_IJLi22EEEENST_IJLi21EEEEEEENS5_IJNST_IJLi1ELi2ELi3ELi4ELi5EEEES10_S11_S12_S13_S14_NST_IJLi11EEEENST_IJLi12ELi13EEEENST_IJLi14ELi15EEEENST_IJLi16ELi17EEEENST_IJLi18EEEES17_S18_S1A_S19_NST_IJLi23ELi24EEEENST_IJLi25EEEEEEENST_IJLi23ELi25ELi24EEEElEENSB_INS5_IJSR_SP_SP_SR_SG_EEENS5_IJSU_SV_SW_SY_SX_EEENS5_IJNST_IJLi1ELi2EEEESX_SY_NST_IJLi5ELi6EEEES11_EEENST_IJLi5ELi7ELi6EEEElEENSB_INS5_IJSK_SP_SP_EEENS5_IJSU_SV_SW_EEENS5_IJS1P_SX_SY_EEENST_IJLi3ELi4EEEElEELi128ELi128ELi16ELi1ELi4ELi4ELi1ENST_IJLi8ELi2EEEES1Z_NST_IJLi8ELi1ELi1ELi1EEEENST_IJLi2ELi1ELi128ELi1EEEENST_IJLi1ELi2ELi0ELi3EEEES22_NST_IJLi4ELi1ELi1ELi1EEEES22_NST_IJLi1ELi1ELi1ELi1EEEES20_S21_S22_S22_S23_S22_S24_NST_IJLi0ELi1ELi2ELi3ELi4ELi5EEEELi5ELi4EEEfNS5_IJPKfEEEfS8_S8_S9_NSB_INS5_IJSE_SG_SI_SI_SI_SG_SG_SK_SK_SK_SG_SN_SN_SP_SP_SR_SG_SG_NSQ_INS5_IJiNS_17integral_constantIiLi128EEEEEELb0EEENSF_INS2A_IiLi1EEEEEEEENS5_IJSU_SV_SW_SX_SY_SZ_S10_S11_S12_S13_S14_S15_S16_S17_S18_S19_S1A_NST_IJLi23EEEES1J_NST_IJLi24EEEEEEENS5_IJS1C_S10_S11_S12_S13_S14_S1D_S1E_S1F_S1G_S1H_S17_S18_S1A_S19_S1I_S1J_NST_IJLi26EEEENST_IJLi27ELi28EEEENST_IJLi29EEEEEEENST_IJLi26ELi27ELi28ELi29EEEElEENSB_INS5_IJSR_SP_SP_SR_SG_SG_S2D_S2F_EEENS5_IJSU_SV_SW_SY_SX_SZ_S11_S10_EEENS5_IJS1P_SX_SY_S1Q_S11_S12_NST_IJLi9ELi10EEEES1D_EEENST_IJLi8ELi9ELi10ELi11EEEElEENS5_IJNSB_INS5_IJSK_SP_SP_NSQ_INS5_IJiNS2A_IiLi2EEENS2A_IiLi64EEEEEELb0EEES2Z_EEENS5_IJSU_SV_SW_SX_SY_EEENS5_IJS1P_SX_SY_NST_IJLi5ELi6ELi7EEEENST_IJLi8ELi9ELi10EEEEEEENST_IJLi5ELi6ELi7ELi8ELi9ELi10EEEElEEEEES36_NS_31BlockToCTileMap_M00_N00_M01_N01ILi128ELi128ES1Y_Lb0EEENS1_30ComputePtrOffsetOfStridedBatchILi1ELi1ELi1EvEELb1ELb1EEEvPKT0_S3E_T1_PT2_T3_T4_T5_iT6_T7_T8_T9_T10_T11_
    .private_segment_fixed_size: 704
    .sgpr_count:     98
    .sgpr_spill_count: 0
    .symbol:         _ZN2ck16tensor_operation6device12_GLOBAL__N_137kernel_grouped_conv_fwd_dl_multiple_dINS_32GridwiseGemmDlMultipleD_km_kn_mnILi256EffNS_5TupleIJfEEEfNS0_12element_wise11PassThroughES8_NS7_7AddReluELNS_25InMemoryDataOperationEnumE0ENS_16TensorDescriptorINS5_IJNS_5EmbedINS5_IJiiiiiEEESD_Lb0EEENS_11PassThroughIiEENS_3PadIiiiLb0EEESI_SI_SG_SG_NSC_INS5_IJiiEEESJ_Lb0EEESK_SK_SG_NS_23Merge_v2_magic_divisionINS5_IJiiiiEEEEESN_NS_8RightPadIiiLb0EEESP_NS_7UnMergeISJ_Lb0EEESG_EEENS5_IJNS_8SequenceIJLi0EEEENST_IJLi1EEEENST_IJLi2EEEENST_IJLi3EEEENST_IJLi4EEEENST_IJLi5EEEENST_IJLi6EEEENST_IJLi7EEEENST_IJLi8EEEENST_IJLi9EEEENST_IJLi10EEEENST_IJLi11ELi13ELi15ELi17EEEENST_IJLi12ELi14ELi16ELi18EEEENST_IJLi19EEEENST_IJLi20EEEENST_IJLi22EEEENST_IJLi21EEEEEEENS5_IJNST_IJLi1ELi2ELi3ELi4ELi5EEEES10_S11_S12_S13_S14_NST_IJLi11EEEENST_IJLi12ELi13EEEENST_IJLi14ELi15EEEENST_IJLi16ELi17EEEENST_IJLi18EEEES17_S18_S1A_S19_NST_IJLi23ELi24EEEENST_IJLi25EEEEEEENST_IJLi23ELi25ELi24EEEElEENSB_INS5_IJSR_SP_SP_SR_SG_EEENS5_IJSU_SV_SW_SY_SX_EEENS5_IJNST_IJLi1ELi2EEEESX_SY_NST_IJLi5ELi6EEEES11_EEENST_IJLi5ELi7ELi6EEEElEENSB_INS5_IJSK_SP_SP_EEENS5_IJSU_SV_SW_EEENS5_IJS1P_SX_SY_EEENST_IJLi3ELi4EEEElEELi128ELi128ELi16ELi1ELi4ELi4ELi1ENST_IJLi8ELi2EEEES1Z_NST_IJLi8ELi1ELi1ELi1EEEENST_IJLi2ELi1ELi128ELi1EEEENST_IJLi1ELi2ELi0ELi3EEEES22_NST_IJLi4ELi1ELi1ELi1EEEES22_NST_IJLi1ELi1ELi1ELi1EEEES20_S21_S22_S22_S23_S22_S24_NST_IJLi0ELi1ELi2ELi3ELi4ELi5EEEELi5ELi4EEEfNS5_IJPKfEEEfS8_S8_S9_NSB_INS5_IJSE_SG_SI_SI_SI_SG_SG_SK_SK_SK_SG_SN_SN_SP_SP_SR_SG_SG_NSQ_INS5_IJiNS_17integral_constantIiLi128EEEEEELb0EEENSF_INS2A_IiLi1EEEEEEEENS5_IJSU_SV_SW_SX_SY_SZ_S10_S11_S12_S13_S14_S15_S16_S17_S18_S19_S1A_NST_IJLi23EEEES1J_NST_IJLi24EEEEEEENS5_IJS1C_S10_S11_S12_S13_S14_S1D_S1E_S1F_S1G_S1H_S17_S18_S1A_S19_S1I_S1J_NST_IJLi26EEEENST_IJLi27ELi28EEEENST_IJLi29EEEEEEENST_IJLi26ELi27ELi28ELi29EEEElEENSB_INS5_IJSR_SP_SP_SR_SG_SG_S2D_S2F_EEENS5_IJSU_SV_SW_SY_SX_SZ_S11_S10_EEENS5_IJS1P_SX_SY_S1Q_S11_S12_NST_IJLi9ELi10EEEES1D_EEENST_IJLi8ELi9ELi10ELi11EEEElEENS5_IJNSB_INS5_IJSK_SP_SP_NSQ_INS5_IJiNS2A_IiLi2EEENS2A_IiLi64EEEEEELb0EEES2Z_EEENS5_IJSU_SV_SW_SX_SY_EEENS5_IJS1P_SX_SY_NST_IJLi5ELi6ELi7EEEENST_IJLi8ELi9ELi10EEEEEEENST_IJLi5ELi6ELi7ELi8ELi9ELi10EEEElEEEEES36_NS_31BlockToCTileMap_M00_N00_M01_N01ILi128ELi128ES1Y_Lb0EEENS1_30ComputePtrOffsetOfStridedBatchILi1ELi1ELi1EvEELb1ELb1EEEvPKT0_S3E_T1_PT2_T3_T4_T5_iT6_T7_T8_T9_T10_T11_.kd
    .uniform_work_group_size: 1
    .uses_dynamic_stack: false
    .vgpr_count:     145
    .vgpr_spill_count: 0
    .wavefront_size: 64
  - .agpr_count:     18
    .args:
      - .address_space:  global
        .offset:         0
        .size:           8
        .value_kind:     global_buffer
      - .address_space:  global
        .offset:         8
        .size:           8
        .value_kind:     global_buffer
      - .address_space:  global
        .offset:         16
        .size:           8
        .value_kind:     global_buffer
      - .address_space:  global
        .offset:         24
        .size:           8
        .value_kind:     global_buffer
      - .offset:         32
        .size:           1
        .value_kind:     by_value
      - .offset:         33
        .size:           1
        .value_kind:     by_value
      - .offset:         34
        .size:           1
        .value_kind:     by_value
      - .offset:         36
        .size:           4
        .value_kind:     by_value
      - .offset:         40
        .size:           320
        .value_kind:     by_value
      - .offset:         360
        .size:           96
        .value_kind:     by_value
      - .offset:         456
        .size:           80
        .value_kind:     by_value
      - .offset:         536
        .size:           80
        .value_kind:     by_value
      - .offset:         616
        .size:           112
        .value_kind:     by_value
      - .offset:         728
        .size:           40
        .value_kind:     by_value
      - .offset:         768
        .size:           4
        .value_kind:     hidden_block_count_x
      - .offset:         772
        .size:           4
        .value_kind:     hidden_block_count_y
      - .offset:         776
        .size:           4
        .value_kind:     hidden_block_count_z
      - .offset:         780
        .size:           2
        .value_kind:     hidden_group_size_x
      - .offset:         782
        .size:           2
        .value_kind:     hidden_group_size_y
      - .offset:         784
        .size:           2
        .value_kind:     hidden_group_size_z
      - .offset:         786
        .size:           2
        .value_kind:     hidden_remainder_x
      - .offset:         788
        .size:           2
        .value_kind:     hidden_remainder_y
      - .offset:         790
        .size:           2
        .value_kind:     hidden_remainder_z
      - .offset:         808
        .size:           8
        .value_kind:     hidden_global_offset_x
      - .offset:         816
        .size:           8
        .value_kind:     hidden_global_offset_y
      - .offset:         824
        .size:           8
        .value_kind:     hidden_global_offset_z
      - .offset:         832
        .size:           2
        .value_kind:     hidden_grid_dims
    .group_segment_fixed_size: 32768
    .kernarg_segment_align: 8
    .kernarg_segment_size: 1024
    .language:       OpenCL C
    .language_version:
      - 2
      - 0
    .max_flat_workgroup_size: 256
    .name:           _ZN2ck16tensor_operation6device12_GLOBAL__N_137kernel_grouped_conv_fwd_dl_multiple_dINS_32GridwiseGemmDlMultipleD_km_kn_mnILi256EffNS_5TupleIJfEEEfNS0_12element_wise11PassThroughES8_NS7_7AddReluELNS_25InMemoryDataOperationEnumE0ENS_16TensorDescriptorINS5_IJNS_5EmbedINS5_IJiiiiiEEESD_Lb0EEENS_11PassThroughIiEENS_3PadIiiiLb0EEESI_SI_SG_SG_NSC_INS5_IJiiEEESJ_Lb0EEESK_SK_SG_NS_23Merge_v2_magic_divisionINS5_IJiiiiEEEEESN_NS_8RightPadIiiLb0EEESP_NS_7UnMergeISJ_Lb0EEESG_EEENS5_IJNS_8SequenceIJLi0EEEENST_IJLi1EEEENST_IJLi2EEEENST_IJLi3EEEENST_IJLi4EEEENST_IJLi5EEEENST_IJLi6EEEENST_IJLi7EEEENST_IJLi8EEEENST_IJLi9EEEENST_IJLi10EEEENST_IJLi11ELi13ELi15ELi17EEEENST_IJLi12ELi14ELi16ELi18EEEENST_IJLi19EEEENST_IJLi20EEEENST_IJLi22EEEENST_IJLi21EEEEEEENS5_IJNST_IJLi1ELi2ELi3ELi4ELi5EEEES10_S11_S12_S13_S14_NST_IJLi11EEEENST_IJLi12ELi13EEEENST_IJLi14ELi15EEEENST_IJLi16ELi17EEEENST_IJLi18EEEES17_S18_S1A_S19_NST_IJLi23ELi24EEEENST_IJLi25EEEEEEENST_IJLi23ELi25ELi24EEEElEENSB_INS5_IJSR_SP_SP_SR_SG_EEENS5_IJSU_SV_SW_SY_SX_EEENS5_IJNST_IJLi1ELi2EEEESX_SY_NST_IJLi5ELi6EEEES11_EEENST_IJLi5ELi7ELi6EEEElEENSB_INS5_IJSK_SP_SP_EEENS5_IJSU_SV_SW_EEENS5_IJS1P_SX_SY_EEENST_IJLi3ELi4EEEElEELi128ELi128ELi16ELi1ELi4ELi4ELi1ENST_IJLi8ELi2EEEES1Z_NST_IJLi8ELi1ELi1ELi1EEEENST_IJLi2ELi1ELi128ELi1EEEENST_IJLi1ELi2ELi0ELi3EEEES22_NST_IJLi4ELi1ELi1ELi1EEEES22_NST_IJLi1ELi1ELi1ELi1EEEES20_S21_S22_S22_S23_S22_S24_NST_IJLi0ELi1ELi2ELi3ELi4ELi5EEEELi5ELi4EEEfNS5_IJPKfEEEfS8_S8_S9_NSB_INS5_IJSE_SG_SI_SI_SI_SG_SG_SK_SK_SK_SG_SN_SN_SP_SP_SR_SG_SG_NSQ_INS5_IJiNS_17integral_constantIiLi128EEEEEELb0EEENSF_INS2A_IiLi1EEEEEEEENS5_IJSU_SV_SW_SX_SY_SZ_S10_S11_S12_S13_S14_S15_S16_S17_S18_S19_S1A_NST_IJLi23EEEES1J_NST_IJLi24EEEEEEENS5_IJS1C_S10_S11_S12_S13_S14_S1D_S1E_S1F_S1G_S1H_S17_S18_S1A_S19_S1I_S1J_NST_IJLi26EEEENST_IJLi27ELi28EEEENST_IJLi29EEEEEEENST_IJLi26ELi27ELi28ELi29EEEElEENSB_INS5_IJSR_SP_SP_SR_SG_SG_S2D_S2F_EEENS5_IJSU_SV_SW_SY_SX_SZ_S11_S10_EEENS5_IJS1P_SX_SY_S1Q_S11_S12_NST_IJLi9ELi10EEEES1D_EEENST_IJLi8ELi9ELi10ELi11EEEElEENS5_IJNSB_INS5_IJSK_SP_SP_NSQ_INS5_IJiNS2A_IiLi2EEENS2A_IiLi64EEEEEELb0EEES2Z_EEENS5_IJSU_SV_SW_SX_SY_EEENS5_IJS1P_SX_SY_NST_IJLi5ELi6ELi7EEEENST_IJLi8ELi9ELi10EEEEEEENST_IJLi5ELi6ELi7ELi8ELi9ELi10EEEElEEEEES36_NS_31BlockToCTileMap_M00_N00_M01_N01ILi128ELi128ES1Y_Lb0EEENS1_30ComputePtrOffsetOfStridedBatchILi1ELi1ELi1EvEELb1ELb0EEEvPKT0_S3E_T1_PT2_T3_T4_T5_iT6_T7_T8_T9_T10_T11_
    .private_segment_fixed_size: 704
    .sgpr_count:     98
    .sgpr_spill_count: 0
    .symbol:         _ZN2ck16tensor_operation6device12_GLOBAL__N_137kernel_grouped_conv_fwd_dl_multiple_dINS_32GridwiseGemmDlMultipleD_km_kn_mnILi256EffNS_5TupleIJfEEEfNS0_12element_wise11PassThroughES8_NS7_7AddReluELNS_25InMemoryDataOperationEnumE0ENS_16TensorDescriptorINS5_IJNS_5EmbedINS5_IJiiiiiEEESD_Lb0EEENS_11PassThroughIiEENS_3PadIiiiLb0EEESI_SI_SG_SG_NSC_INS5_IJiiEEESJ_Lb0EEESK_SK_SG_NS_23Merge_v2_magic_divisionINS5_IJiiiiEEEEESN_NS_8RightPadIiiLb0EEESP_NS_7UnMergeISJ_Lb0EEESG_EEENS5_IJNS_8SequenceIJLi0EEEENST_IJLi1EEEENST_IJLi2EEEENST_IJLi3EEEENST_IJLi4EEEENST_IJLi5EEEENST_IJLi6EEEENST_IJLi7EEEENST_IJLi8EEEENST_IJLi9EEEENST_IJLi10EEEENST_IJLi11ELi13ELi15ELi17EEEENST_IJLi12ELi14ELi16ELi18EEEENST_IJLi19EEEENST_IJLi20EEEENST_IJLi22EEEENST_IJLi21EEEEEEENS5_IJNST_IJLi1ELi2ELi3ELi4ELi5EEEES10_S11_S12_S13_S14_NST_IJLi11EEEENST_IJLi12ELi13EEEENST_IJLi14ELi15EEEENST_IJLi16ELi17EEEENST_IJLi18EEEES17_S18_S1A_S19_NST_IJLi23ELi24EEEENST_IJLi25EEEEEEENST_IJLi23ELi25ELi24EEEElEENSB_INS5_IJSR_SP_SP_SR_SG_EEENS5_IJSU_SV_SW_SY_SX_EEENS5_IJNST_IJLi1ELi2EEEESX_SY_NST_IJLi5ELi6EEEES11_EEENST_IJLi5ELi7ELi6EEEElEENSB_INS5_IJSK_SP_SP_EEENS5_IJSU_SV_SW_EEENS5_IJS1P_SX_SY_EEENST_IJLi3ELi4EEEElEELi128ELi128ELi16ELi1ELi4ELi4ELi1ENST_IJLi8ELi2EEEES1Z_NST_IJLi8ELi1ELi1ELi1EEEENST_IJLi2ELi1ELi128ELi1EEEENST_IJLi1ELi2ELi0ELi3EEEES22_NST_IJLi4ELi1ELi1ELi1EEEES22_NST_IJLi1ELi1ELi1ELi1EEEES20_S21_S22_S22_S23_S22_S24_NST_IJLi0ELi1ELi2ELi3ELi4ELi5EEEELi5ELi4EEEfNS5_IJPKfEEEfS8_S8_S9_NSB_INS5_IJSE_SG_SI_SI_SI_SG_SG_SK_SK_SK_SG_SN_SN_SP_SP_SR_SG_SG_NSQ_INS5_IJiNS_17integral_constantIiLi128EEEEEELb0EEENSF_INS2A_IiLi1EEEEEEEENS5_IJSU_SV_SW_SX_SY_SZ_S10_S11_S12_S13_S14_S15_S16_S17_S18_S19_S1A_NST_IJLi23EEEES1J_NST_IJLi24EEEEEEENS5_IJS1C_S10_S11_S12_S13_S14_S1D_S1E_S1F_S1G_S1H_S17_S18_S1A_S19_S1I_S1J_NST_IJLi26EEEENST_IJLi27ELi28EEEENST_IJLi29EEEEEEENST_IJLi26ELi27ELi28ELi29EEEElEENSB_INS5_IJSR_SP_SP_SR_SG_SG_S2D_S2F_EEENS5_IJSU_SV_SW_SY_SX_SZ_S11_S10_EEENS5_IJS1P_SX_SY_S1Q_S11_S12_NST_IJLi9ELi10EEEES1D_EEENST_IJLi8ELi9ELi10ELi11EEEElEENS5_IJNSB_INS5_IJSK_SP_SP_NSQ_INS5_IJiNS2A_IiLi2EEENS2A_IiLi64EEEEEELb0EEES2Z_EEENS5_IJSU_SV_SW_SX_SY_EEENS5_IJS1P_SX_SY_NST_IJLi5ELi6ELi7EEEENST_IJLi8ELi9ELi10EEEEEEENST_IJLi5ELi6ELi7ELi8ELi9ELi10EEEElEEEEES36_NS_31BlockToCTileMap_M00_N00_M01_N01ILi128ELi128ES1Y_Lb0EEENS1_30ComputePtrOffsetOfStridedBatchILi1ELi1ELi1EvEELb1ELb0EEEvPKT0_S3E_T1_PT2_T3_T4_T5_iT6_T7_T8_T9_T10_T11_.kd
    .uniform_work_group_size: 1
    .uses_dynamic_stack: false
    .vgpr_count:     146
    .vgpr_spill_count: 0
    .wavefront_size: 64
  - .agpr_count:     0
    .args:
      - .address_space:  global
        .offset:         0
        .size:           8
        .value_kind:     global_buffer
      - .address_space:  global
        .offset:         8
        .size:           8
        .value_kind:     global_buffer
      - .address_space:  global
        .offset:         16
        .size:           8
        .value_kind:     global_buffer
      - .address_space:  global
        .offset:         24
        .size:           8
        .value_kind:     global_buffer
      - .offset:         32
        .size:           1
        .value_kind:     by_value
      - .offset:         33
        .size:           1
        .value_kind:     by_value
      - .offset:         34
        .size:           1
        .value_kind:     by_value
      - .offset:         36
        .size:           4
        .value_kind:     by_value
      - .offset:         40
        .size:           320
        .value_kind:     by_value
      - .offset:         360
        .size:           96
        .value_kind:     by_value
      - .offset:         456
        .size:           80
        .value_kind:     by_value
      - .offset:         536
        .size:           80
        .value_kind:     by_value
      - .offset:         616
        .size:           112
        .value_kind:     by_value
      - .offset:         728
        .size:           40
        .value_kind:     by_value
      - .offset:         768
        .size:           4
        .value_kind:     hidden_block_count_x
      - .offset:         772
        .size:           4
        .value_kind:     hidden_block_count_y
      - .offset:         776
        .size:           4
        .value_kind:     hidden_block_count_z
      - .offset:         780
        .size:           2
        .value_kind:     hidden_group_size_x
      - .offset:         782
        .size:           2
        .value_kind:     hidden_group_size_y
      - .offset:         784
        .size:           2
        .value_kind:     hidden_group_size_z
      - .offset:         786
        .size:           2
        .value_kind:     hidden_remainder_x
      - .offset:         788
        .size:           2
        .value_kind:     hidden_remainder_y
      - .offset:         790
        .size:           2
        .value_kind:     hidden_remainder_z
      - .offset:         808
        .size:           8
        .value_kind:     hidden_global_offset_x
      - .offset:         816
        .size:           8
        .value_kind:     hidden_global_offset_y
      - .offset:         824
        .size:           8
        .value_kind:     hidden_global_offset_z
      - .offset:         832
        .size:           2
        .value_kind:     hidden_grid_dims
    .group_segment_fixed_size: 32768
    .kernarg_segment_align: 8
    .kernarg_segment_size: 1024
    .language:       OpenCL C
    .language_version:
      - 2
      - 0
    .max_flat_workgroup_size: 256
    .name:           _ZN2ck16tensor_operation6device12_GLOBAL__N_137kernel_grouped_conv_fwd_dl_multiple_dINS_32GridwiseGemmDlMultipleD_km_kn_mnILi256EffNS_5TupleIJfEEEfNS0_12element_wise11PassThroughES8_NS7_7AddReluELNS_25InMemoryDataOperationEnumE0ENS_16TensorDescriptorINS5_IJNS_5EmbedINS5_IJiiiiiEEESD_Lb0EEENS_11PassThroughIiEENS_3PadIiiiLb0EEESI_SI_SG_SG_NSC_INS5_IJiiEEESJ_Lb0EEESK_SK_SG_NS_23Merge_v2_magic_divisionINS5_IJiiiiEEEEESN_NS_8RightPadIiiLb0EEESP_NS_7UnMergeISJ_Lb0EEESG_EEENS5_IJNS_8SequenceIJLi0EEEENST_IJLi1EEEENST_IJLi2EEEENST_IJLi3EEEENST_IJLi4EEEENST_IJLi5EEEENST_IJLi6EEEENST_IJLi7EEEENST_IJLi8EEEENST_IJLi9EEEENST_IJLi10EEEENST_IJLi11ELi13ELi15ELi17EEEENST_IJLi12ELi14ELi16ELi18EEEENST_IJLi19EEEENST_IJLi20EEEENST_IJLi22EEEENST_IJLi21EEEEEEENS5_IJNST_IJLi1ELi2ELi3ELi4ELi5EEEES10_S11_S12_S13_S14_NST_IJLi11EEEENST_IJLi12ELi13EEEENST_IJLi14ELi15EEEENST_IJLi16ELi17EEEENST_IJLi18EEEES17_S18_S1A_S19_NST_IJLi23ELi24EEEENST_IJLi25EEEEEEENST_IJLi23ELi25ELi24EEEElEENSB_INS5_IJSR_SP_SP_SR_SG_EEENS5_IJSU_SV_SW_SY_SX_EEENS5_IJNST_IJLi1ELi2EEEESX_SY_NST_IJLi5ELi6EEEES11_EEENST_IJLi5ELi7ELi6EEEElEENSB_INS5_IJSK_SP_SP_EEENS5_IJSU_SV_SW_EEENS5_IJS1P_SX_SY_EEENST_IJLi3ELi4EEEElEELi128ELi128ELi16ELi1ELi4ELi4ELi1ENST_IJLi8ELi2EEEES1Z_NST_IJLi8ELi1ELi1ELi1EEEENST_IJLi2ELi1ELi128ELi1EEEENST_IJLi1ELi2ELi0ELi3EEEES22_NST_IJLi4ELi1ELi1ELi1EEEES22_NST_IJLi1ELi1ELi1ELi1EEEES20_S21_S22_S22_S23_S22_S24_NST_IJLi0ELi1ELi2ELi3ELi4ELi5EEEELi5ELi4EEEfNS5_IJPKfEEEfS8_S8_S9_NSB_INS5_IJSE_SG_SI_SI_SI_SG_SG_SK_SK_SK_SG_SN_SN_SP_SP_SR_SG_SG_NSQ_INS5_IJiNS_17integral_constantIiLi128EEEEEELb0EEENSF_INS2A_IiLi1EEEEEEEENS5_IJSU_SV_SW_SX_SY_SZ_S10_S11_S12_S13_S14_S15_S16_S17_S18_S19_S1A_NST_IJLi23EEEES1J_NST_IJLi24EEEEEEENS5_IJS1C_S10_S11_S12_S13_S14_S1D_S1E_S1F_S1G_S1H_S17_S18_S1A_S19_S1I_S1J_NST_IJLi26EEEENST_IJLi27ELi28EEEENST_IJLi29EEEEEEENST_IJLi26ELi27ELi28ELi29EEEElEENSB_INS5_IJSR_SP_SP_SR_SG_SG_S2D_S2F_EEENS5_IJSU_SV_SW_SY_SX_SZ_S11_S10_EEENS5_IJS1P_SX_SY_S1Q_S11_S12_NST_IJLi9ELi10EEEES1D_EEENST_IJLi8ELi9ELi10ELi11EEEElEENS5_IJNSB_INS5_IJSK_SP_SP_NSQ_INS5_IJiNS2A_IiLi2EEENS2A_IiLi64EEEEEELb0EEES2Z_EEENS5_IJSU_SV_SW_SX_SY_EEENS5_IJS1P_SX_SY_NST_IJLi5ELi6ELi7EEEENST_IJLi8ELi9ELi10EEEEEEENST_IJLi5ELi6ELi7ELi8ELi9ELi10EEEElEEEEES36_NS_31BlockToCTileMap_M00_N00_M01_N01ILi128ELi128ES1Y_Lb0EEENS1_30ComputePtrOffsetOfStridedBatchILi1ELi1ELi1EvEELb0ELb1EEEvPKT0_S3E_T1_PT2_T3_T4_T5_iT6_T7_T8_T9_T10_T11_
    .private_segment_fixed_size: 0
    .sgpr_count:     89
    .sgpr_spill_count: 0
    .symbol:         _ZN2ck16tensor_operation6device12_GLOBAL__N_137kernel_grouped_conv_fwd_dl_multiple_dINS_32GridwiseGemmDlMultipleD_km_kn_mnILi256EffNS_5TupleIJfEEEfNS0_12element_wise11PassThroughES8_NS7_7AddReluELNS_25InMemoryDataOperationEnumE0ENS_16TensorDescriptorINS5_IJNS_5EmbedINS5_IJiiiiiEEESD_Lb0EEENS_11PassThroughIiEENS_3PadIiiiLb0EEESI_SI_SG_SG_NSC_INS5_IJiiEEESJ_Lb0EEESK_SK_SG_NS_23Merge_v2_magic_divisionINS5_IJiiiiEEEEESN_NS_8RightPadIiiLb0EEESP_NS_7UnMergeISJ_Lb0EEESG_EEENS5_IJNS_8SequenceIJLi0EEEENST_IJLi1EEEENST_IJLi2EEEENST_IJLi3EEEENST_IJLi4EEEENST_IJLi5EEEENST_IJLi6EEEENST_IJLi7EEEENST_IJLi8EEEENST_IJLi9EEEENST_IJLi10EEEENST_IJLi11ELi13ELi15ELi17EEEENST_IJLi12ELi14ELi16ELi18EEEENST_IJLi19EEEENST_IJLi20EEEENST_IJLi22EEEENST_IJLi21EEEEEEENS5_IJNST_IJLi1ELi2ELi3ELi4ELi5EEEES10_S11_S12_S13_S14_NST_IJLi11EEEENST_IJLi12ELi13EEEENST_IJLi14ELi15EEEENST_IJLi16ELi17EEEENST_IJLi18EEEES17_S18_S1A_S19_NST_IJLi23ELi24EEEENST_IJLi25EEEEEEENST_IJLi23ELi25ELi24EEEElEENSB_INS5_IJSR_SP_SP_SR_SG_EEENS5_IJSU_SV_SW_SY_SX_EEENS5_IJNST_IJLi1ELi2EEEESX_SY_NST_IJLi5ELi6EEEES11_EEENST_IJLi5ELi7ELi6EEEElEENSB_INS5_IJSK_SP_SP_EEENS5_IJSU_SV_SW_EEENS5_IJS1P_SX_SY_EEENST_IJLi3ELi4EEEElEELi128ELi128ELi16ELi1ELi4ELi4ELi1ENST_IJLi8ELi2EEEES1Z_NST_IJLi8ELi1ELi1ELi1EEEENST_IJLi2ELi1ELi128ELi1EEEENST_IJLi1ELi2ELi0ELi3EEEES22_NST_IJLi4ELi1ELi1ELi1EEEES22_NST_IJLi1ELi1ELi1ELi1EEEES20_S21_S22_S22_S23_S22_S24_NST_IJLi0ELi1ELi2ELi3ELi4ELi5EEEELi5ELi4EEEfNS5_IJPKfEEEfS8_S8_S9_NSB_INS5_IJSE_SG_SI_SI_SI_SG_SG_SK_SK_SK_SG_SN_SN_SP_SP_SR_SG_SG_NSQ_INS5_IJiNS_17integral_constantIiLi128EEEEEELb0EEENSF_INS2A_IiLi1EEEEEEEENS5_IJSU_SV_SW_SX_SY_SZ_S10_S11_S12_S13_S14_S15_S16_S17_S18_S19_S1A_NST_IJLi23EEEES1J_NST_IJLi24EEEEEEENS5_IJS1C_S10_S11_S12_S13_S14_S1D_S1E_S1F_S1G_S1H_S17_S18_S1A_S19_S1I_S1J_NST_IJLi26EEEENST_IJLi27ELi28EEEENST_IJLi29EEEEEEENST_IJLi26ELi27ELi28ELi29EEEElEENSB_INS5_IJSR_SP_SP_SR_SG_SG_S2D_S2F_EEENS5_IJSU_SV_SW_SY_SX_SZ_S11_S10_EEENS5_IJS1P_SX_SY_S1Q_S11_S12_NST_IJLi9ELi10EEEES1D_EEENST_IJLi8ELi9ELi10ELi11EEEElEENS5_IJNSB_INS5_IJSK_SP_SP_NSQ_INS5_IJiNS2A_IiLi2EEENS2A_IiLi64EEEEEELb0EEES2Z_EEENS5_IJSU_SV_SW_SX_SY_EEENS5_IJS1P_SX_SY_NST_IJLi5ELi6ELi7EEEENST_IJLi8ELi9ELi10EEEEEEENST_IJLi5ELi6ELi7ELi8ELi9ELi10EEEElEEEEES36_NS_31BlockToCTileMap_M00_N00_M01_N01ILi128ELi128ES1Y_Lb0EEENS1_30ComputePtrOffsetOfStridedBatchILi1ELi1ELi1EvEELb0ELb1EEEvPKT0_S3E_T1_PT2_T3_T4_T5_iT6_T7_T8_T9_T10_T11_.kd
    .uniform_work_group_size: 1
    .uses_dynamic_stack: false
    .vgpr_count:     105
    .vgpr_spill_count: 0
    .wavefront_size: 64
  - .agpr_count:     0
    .args:
      - .address_space:  global
        .offset:         0
        .size:           8
        .value_kind:     global_buffer
      - .address_space:  global
        .offset:         8
        .size:           8
        .value_kind:     global_buffer
      - .address_space:  global
        .offset:         16
        .size:           8
        .value_kind:     global_buffer
      - .address_space:  global
        .offset:         24
        .size:           8
        .value_kind:     global_buffer
      - .offset:         32
        .size:           1
        .value_kind:     by_value
      - .offset:         33
        .size:           1
        .value_kind:     by_value
      - .offset:         34
        .size:           1
        .value_kind:     by_value
      - .offset:         36
        .size:           4
        .value_kind:     by_value
      - .offset:         40
        .size:           320
        .value_kind:     by_value
      - .offset:         360
        .size:           96
        .value_kind:     by_value
      - .offset:         456
        .size:           80
        .value_kind:     by_value
      - .offset:         536
        .size:           80
        .value_kind:     by_value
      - .offset:         616
        .size:           112
        .value_kind:     by_value
      - .offset:         728
        .size:           40
        .value_kind:     by_value
      - .offset:         768
        .size:           4
        .value_kind:     hidden_block_count_x
      - .offset:         772
        .size:           4
        .value_kind:     hidden_block_count_y
      - .offset:         776
        .size:           4
        .value_kind:     hidden_block_count_z
      - .offset:         780
        .size:           2
        .value_kind:     hidden_group_size_x
      - .offset:         782
        .size:           2
        .value_kind:     hidden_group_size_y
      - .offset:         784
        .size:           2
        .value_kind:     hidden_group_size_z
      - .offset:         786
        .size:           2
        .value_kind:     hidden_remainder_x
      - .offset:         788
        .size:           2
        .value_kind:     hidden_remainder_y
      - .offset:         790
        .size:           2
        .value_kind:     hidden_remainder_z
      - .offset:         808
        .size:           8
        .value_kind:     hidden_global_offset_x
      - .offset:         816
        .size:           8
        .value_kind:     hidden_global_offset_y
      - .offset:         824
        .size:           8
        .value_kind:     hidden_global_offset_z
      - .offset:         832
        .size:           2
        .value_kind:     hidden_grid_dims
    .group_segment_fixed_size: 32768
    .kernarg_segment_align: 8
    .kernarg_segment_size: 1024
    .language:       OpenCL C
    .language_version:
      - 2
      - 0
    .max_flat_workgroup_size: 256
    .name:           _ZN2ck16tensor_operation6device12_GLOBAL__N_137kernel_grouped_conv_fwd_dl_multiple_dINS_32GridwiseGemmDlMultipleD_km_kn_mnILi256EffNS_5TupleIJfEEEfNS0_12element_wise11PassThroughES8_NS7_7AddReluELNS_25InMemoryDataOperationEnumE0ENS_16TensorDescriptorINS5_IJNS_5EmbedINS5_IJiiiiiEEESD_Lb0EEENS_11PassThroughIiEENS_3PadIiiiLb0EEESI_SI_SG_SG_NSC_INS5_IJiiEEESJ_Lb0EEESK_SK_SG_NS_23Merge_v2_magic_divisionINS5_IJiiiiEEEEESN_NS_8RightPadIiiLb0EEESP_NS_7UnMergeISJ_Lb0EEESG_EEENS5_IJNS_8SequenceIJLi0EEEENST_IJLi1EEEENST_IJLi2EEEENST_IJLi3EEEENST_IJLi4EEEENST_IJLi5EEEENST_IJLi6EEEENST_IJLi7EEEENST_IJLi8EEEENST_IJLi9EEEENST_IJLi10EEEENST_IJLi11ELi13ELi15ELi17EEEENST_IJLi12ELi14ELi16ELi18EEEENST_IJLi19EEEENST_IJLi20EEEENST_IJLi22EEEENST_IJLi21EEEEEEENS5_IJNST_IJLi1ELi2ELi3ELi4ELi5EEEES10_S11_S12_S13_S14_NST_IJLi11EEEENST_IJLi12ELi13EEEENST_IJLi14ELi15EEEENST_IJLi16ELi17EEEENST_IJLi18EEEES17_S18_S1A_S19_NST_IJLi23ELi24EEEENST_IJLi25EEEEEEENST_IJLi23ELi25ELi24EEEElEENSB_INS5_IJSR_SP_SP_SR_SG_EEENS5_IJSU_SV_SW_SY_SX_EEENS5_IJNST_IJLi1ELi2EEEESX_SY_NST_IJLi5ELi6EEEES11_EEENST_IJLi5ELi7ELi6EEEElEENSB_INS5_IJSK_SP_SP_EEENS5_IJSU_SV_SW_EEENS5_IJS1P_SX_SY_EEENST_IJLi3ELi4EEEElEELi128ELi128ELi16ELi1ELi4ELi4ELi1ENST_IJLi8ELi2EEEES1Z_NST_IJLi8ELi1ELi1ELi1EEEENST_IJLi2ELi1ELi128ELi1EEEENST_IJLi1ELi2ELi0ELi3EEEES22_NST_IJLi4ELi1ELi1ELi1EEEES22_NST_IJLi1ELi1ELi1ELi1EEEES20_S21_S22_S22_S23_S22_S24_NST_IJLi0ELi1ELi2ELi3ELi4ELi5EEEELi5ELi4EEEfNS5_IJPKfEEEfS8_S8_S9_NSB_INS5_IJSE_SG_SI_SI_SI_SG_SG_SK_SK_SK_SG_SN_SN_SP_SP_SR_SG_SG_NSQ_INS5_IJiNS_17integral_constantIiLi128EEEEEELb0EEENSF_INS2A_IiLi1EEEEEEEENS5_IJSU_SV_SW_SX_SY_SZ_S10_S11_S12_S13_S14_S15_S16_S17_S18_S19_S1A_NST_IJLi23EEEES1J_NST_IJLi24EEEEEEENS5_IJS1C_S10_S11_S12_S13_S14_S1D_S1E_S1F_S1G_S1H_S17_S18_S1A_S19_S1I_S1J_NST_IJLi26EEEENST_IJLi27ELi28EEEENST_IJLi29EEEEEEENST_IJLi26ELi27ELi28ELi29EEEElEENSB_INS5_IJSR_SP_SP_SR_SG_SG_S2D_S2F_EEENS5_IJSU_SV_SW_SY_SX_SZ_S11_S10_EEENS5_IJS1P_SX_SY_S1Q_S11_S12_NST_IJLi9ELi10EEEES1D_EEENST_IJLi8ELi9ELi10ELi11EEEElEENS5_IJNSB_INS5_IJSK_SP_SP_NSQ_INS5_IJiNS2A_IiLi2EEENS2A_IiLi64EEEEEELb0EEES2Z_EEENS5_IJSU_SV_SW_SX_SY_EEENS5_IJS1P_SX_SY_NST_IJLi5ELi6ELi7EEEENST_IJLi8ELi9ELi10EEEEEEENST_IJLi5ELi6ELi7ELi8ELi9ELi10EEEElEEEEES36_NS_31BlockToCTileMap_M00_N00_M01_N01ILi128ELi128ES1Y_Lb0EEENS1_30ComputePtrOffsetOfStridedBatchILi1ELi1ELi1EvEELb0ELb0EEEvPKT0_S3E_T1_PT2_T3_T4_T5_iT6_T7_T8_T9_T10_T11_
    .private_segment_fixed_size: 0
    .sgpr_count:     82
    .sgpr_spill_count: 0
    .symbol:         _ZN2ck16tensor_operation6device12_GLOBAL__N_137kernel_grouped_conv_fwd_dl_multiple_dINS_32GridwiseGemmDlMultipleD_km_kn_mnILi256EffNS_5TupleIJfEEEfNS0_12element_wise11PassThroughES8_NS7_7AddReluELNS_25InMemoryDataOperationEnumE0ENS_16TensorDescriptorINS5_IJNS_5EmbedINS5_IJiiiiiEEESD_Lb0EEENS_11PassThroughIiEENS_3PadIiiiLb0EEESI_SI_SG_SG_NSC_INS5_IJiiEEESJ_Lb0EEESK_SK_SG_NS_23Merge_v2_magic_divisionINS5_IJiiiiEEEEESN_NS_8RightPadIiiLb0EEESP_NS_7UnMergeISJ_Lb0EEESG_EEENS5_IJNS_8SequenceIJLi0EEEENST_IJLi1EEEENST_IJLi2EEEENST_IJLi3EEEENST_IJLi4EEEENST_IJLi5EEEENST_IJLi6EEEENST_IJLi7EEEENST_IJLi8EEEENST_IJLi9EEEENST_IJLi10EEEENST_IJLi11ELi13ELi15ELi17EEEENST_IJLi12ELi14ELi16ELi18EEEENST_IJLi19EEEENST_IJLi20EEEENST_IJLi22EEEENST_IJLi21EEEEEEENS5_IJNST_IJLi1ELi2ELi3ELi4ELi5EEEES10_S11_S12_S13_S14_NST_IJLi11EEEENST_IJLi12ELi13EEEENST_IJLi14ELi15EEEENST_IJLi16ELi17EEEENST_IJLi18EEEES17_S18_S1A_S19_NST_IJLi23ELi24EEEENST_IJLi25EEEEEEENST_IJLi23ELi25ELi24EEEElEENSB_INS5_IJSR_SP_SP_SR_SG_EEENS5_IJSU_SV_SW_SY_SX_EEENS5_IJNST_IJLi1ELi2EEEESX_SY_NST_IJLi5ELi6EEEES11_EEENST_IJLi5ELi7ELi6EEEElEENSB_INS5_IJSK_SP_SP_EEENS5_IJSU_SV_SW_EEENS5_IJS1P_SX_SY_EEENST_IJLi3ELi4EEEElEELi128ELi128ELi16ELi1ELi4ELi4ELi1ENST_IJLi8ELi2EEEES1Z_NST_IJLi8ELi1ELi1ELi1EEEENST_IJLi2ELi1ELi128ELi1EEEENST_IJLi1ELi2ELi0ELi3EEEES22_NST_IJLi4ELi1ELi1ELi1EEEES22_NST_IJLi1ELi1ELi1ELi1EEEES20_S21_S22_S22_S23_S22_S24_NST_IJLi0ELi1ELi2ELi3ELi4ELi5EEEELi5ELi4EEEfNS5_IJPKfEEEfS8_S8_S9_NSB_INS5_IJSE_SG_SI_SI_SI_SG_SG_SK_SK_SK_SG_SN_SN_SP_SP_SR_SG_SG_NSQ_INS5_IJiNS_17integral_constantIiLi128EEEEEELb0EEENSF_INS2A_IiLi1EEEEEEEENS5_IJSU_SV_SW_SX_SY_SZ_S10_S11_S12_S13_S14_S15_S16_S17_S18_S19_S1A_NST_IJLi23EEEES1J_NST_IJLi24EEEEEEENS5_IJS1C_S10_S11_S12_S13_S14_S1D_S1E_S1F_S1G_S1H_S17_S18_S1A_S19_S1I_S1J_NST_IJLi26EEEENST_IJLi27ELi28EEEENST_IJLi29EEEEEEENST_IJLi26ELi27ELi28ELi29EEEElEENSB_INS5_IJSR_SP_SP_SR_SG_SG_S2D_S2F_EEENS5_IJSU_SV_SW_SY_SX_SZ_S11_S10_EEENS5_IJS1P_SX_SY_S1Q_S11_S12_NST_IJLi9ELi10EEEES1D_EEENST_IJLi8ELi9ELi10ELi11EEEElEENS5_IJNSB_INS5_IJSK_SP_SP_NSQ_INS5_IJiNS2A_IiLi2EEENS2A_IiLi64EEEEEELb0EEES2Z_EEENS5_IJSU_SV_SW_SX_SY_EEENS5_IJS1P_SX_SY_NST_IJLi5ELi6ELi7EEEENST_IJLi8ELi9ELi10EEEEEEENST_IJLi5ELi6ELi7ELi8ELi9ELi10EEEElEEEEES36_NS_31BlockToCTileMap_M00_N00_M01_N01ILi128ELi128ES1Y_Lb0EEENS1_30ComputePtrOffsetOfStridedBatchILi1ELi1ELi1EvEELb0ELb0EEEvPKT0_S3E_T1_PT2_T3_T4_T5_iT6_T7_T8_T9_T10_T11_.kd
    .uniform_work_group_size: 1
    .uses_dynamic_stack: false
    .vgpr_count:     105
    .vgpr_spill_count: 0
    .wavefront_size: 64
amdhsa.target:   amdgcn-amd-amdhsa--gfx90a
amdhsa.version:
  - 1
  - 2
...

	.end_amdgpu_metadata
